;; amdgpu-corpus repo=zjin-lcf/HeCBench kind=compiled arch=gfx1250 opt=O3
	.amdgcn_target "amdgcn-amd-amdhsa--gfx1250"
	.amdhsa_code_object_version 6
	.section	.text._Z19uniform_fill_kernelIfEvPT_mffj,"axG",@progbits,_Z19uniform_fill_kernelIfEvPT_mffj,comdat
	.protected	_Z19uniform_fill_kernelIfEvPT_mffj ; -- Begin function _Z19uniform_fill_kernelIfEvPT_mffj
	.globl	_Z19uniform_fill_kernelIfEvPT_mffj
	.p2align	8
	.type	_Z19uniform_fill_kernelIfEvPT_mffj,@function
_Z19uniform_fill_kernelIfEvPT_mffj:     ; @_Z19uniform_fill_kernelIfEvPT_mffj
; %bb.0:
	s_clause 0x1
	s_load_b32 s2, s[0:1], 0x2c
	s_load_b128 s[4:7], s[0:1], 0x0
	s_bfe_u32 s3, ttmp6, 0x4000c
	s_and_b32 s8, ttmp6, 15
	s_add_co_i32 s3, s3, 1
	s_getreg_b32 s9, hwreg(HW_REG_IB_STS2, 6, 4)
	s_mul_i32 s3, ttmp9, s3
	v_mov_b32_e32 v1, 0
	s_add_co_i32 s8, s8, s3
	s_wait_kmcnt 0x0
	s_and_b32 s2, s2, 0xffff
	s_cmp_eq_u32 s9, 0
	s_cselect_b32 s3, ttmp9, s8
	s_delay_alu instid0(SALU_CYCLE_1) | instskip(SKIP_1) | instid1(VALU_DEP_1)
	v_mad_nc_u64_u32 v[0:1], s2, s3, v[0:1]
	s_mov_b32 s2, exec_lo
	v_cmpx_gt_u64_e64 s[6:7], v[0:1]
	s_cbranch_execz .LBB0_2
; %bb.1:
	s_load_b96 s[0:2], s[0:1], 0x10
	s_wait_kmcnt 0x0
	v_xor_b32_e32 v2, s2, v0
	s_sub_f32 s1, s1, s0
	v_lshl_add_u64 v[0:1], v[0:1], 2, s[4:5]
	s_delay_alu instid0(VALU_DEP_2) | instskip(NEXT) | instid1(VALU_DEP_1)
	v_lshlrev_b32_e32 v3, 13, v2
	v_xor_b32_e32 v2, v3, v2
	s_delay_alu instid0(VALU_DEP_1) | instskip(NEXT) | instid1(VALU_DEP_1)
	v_lshrrev_b32_e32 v3, 17, v2
	v_xor_b32_e32 v2, v3, v2
	s_delay_alu instid0(VALU_DEP_1) | instskip(NEXT) | instid1(VALU_DEP_1)
	v_lshlrev_b32_e32 v3, 5, v2
	v_xor_b32_e32 v2, v3, v2
	s_delay_alu instid0(VALU_DEP_1) | instskip(NEXT) | instid1(VALU_DEP_1)
	v_lshrrev_b32_e32 v2, 8, v2
	v_cvt_f32_u32_e32 v2, v2
	s_delay_alu instid0(VALU_DEP_1) | instskip(NEXT) | instid1(VALU_DEP_1)
	v_mul_f32_e32 v2, 0x33800000, v2
	v_fma_f32 v2, s1, v2, s0
	global_store_b32 v[0:1], v2, off
.LBB0_2:
	s_endpgm
	.section	.rodata,"a",@progbits
	.p2align	6, 0x0
	.amdhsa_kernel _Z19uniform_fill_kernelIfEvPT_mffj
		.amdhsa_group_segment_fixed_size 0
		.amdhsa_private_segment_fixed_size 0
		.amdhsa_kernarg_size 288
		.amdhsa_user_sgpr_count 2
		.amdhsa_user_sgpr_dispatch_ptr 0
		.amdhsa_user_sgpr_queue_ptr 0
		.amdhsa_user_sgpr_kernarg_segment_ptr 1
		.amdhsa_user_sgpr_dispatch_id 0
		.amdhsa_user_sgpr_kernarg_preload_length 0
		.amdhsa_user_sgpr_kernarg_preload_offset 0
		.amdhsa_user_sgpr_private_segment_size 0
		.amdhsa_wavefront_size32 1
		.amdhsa_uses_dynamic_stack 0
		.amdhsa_enable_private_segment 0
		.amdhsa_system_sgpr_workgroup_id_x 1
		.amdhsa_system_sgpr_workgroup_id_y 0
		.amdhsa_system_sgpr_workgroup_id_z 0
		.amdhsa_system_sgpr_workgroup_info 0
		.amdhsa_system_vgpr_workitem_id 0
		.amdhsa_next_free_vgpr 4
		.amdhsa_next_free_sgpr 10
		.amdhsa_named_barrier_count 0
		.amdhsa_reserve_vcc 0
		.amdhsa_float_round_mode_32 0
		.amdhsa_float_round_mode_16_64 0
		.amdhsa_float_denorm_mode_32 3
		.amdhsa_float_denorm_mode_16_64 3
		.amdhsa_fp16_overflow 0
		.amdhsa_memory_ordered 1
		.amdhsa_forward_progress 1
		.amdhsa_inst_pref_size 2
		.amdhsa_round_robin_scheduling 0
		.amdhsa_exception_fp_ieee_invalid_op 0
		.amdhsa_exception_fp_denorm_src 0
		.amdhsa_exception_fp_ieee_div_zero 0
		.amdhsa_exception_fp_ieee_overflow 0
		.amdhsa_exception_fp_ieee_underflow 0
		.amdhsa_exception_fp_ieee_inexact 0
		.amdhsa_exception_int_div_zero 0
	.end_amdhsa_kernel
	.section	.text._Z19uniform_fill_kernelIfEvPT_mffj,"axG",@progbits,_Z19uniform_fill_kernelIfEvPT_mffj,comdat
.Lfunc_end0:
	.size	_Z19uniform_fill_kernelIfEvPT_mffj, .Lfunc_end0-_Z19uniform_fill_kernelIfEvPT_mffj
                                        ; -- End function
	.set _Z19uniform_fill_kernelIfEvPT_mffj.num_vgpr, 4
	.set _Z19uniform_fill_kernelIfEvPT_mffj.num_agpr, 0
	.set _Z19uniform_fill_kernelIfEvPT_mffj.numbered_sgpr, 10
	.set _Z19uniform_fill_kernelIfEvPT_mffj.num_named_barrier, 0
	.set _Z19uniform_fill_kernelIfEvPT_mffj.private_seg_size, 0
	.set _Z19uniform_fill_kernelIfEvPT_mffj.uses_vcc, 0
	.set _Z19uniform_fill_kernelIfEvPT_mffj.uses_flat_scratch, 0
	.set _Z19uniform_fill_kernelIfEvPT_mffj.has_dyn_sized_stack, 0
	.set _Z19uniform_fill_kernelIfEvPT_mffj.has_recursion, 0
	.set _Z19uniform_fill_kernelIfEvPT_mffj.has_indirect_call, 0
	.section	.AMDGPU.csdata,"",@progbits
; Kernel info:
; codeLenInByte = 212
; TotalNumSgprs: 10
; NumVgprs: 4
; ScratchSize: 0
; MemoryBound: 0
; FloatMode: 240
; IeeeMode: 1
; LDSByteSize: 0 bytes/workgroup (compile time only)
; SGPRBlocks: 0
; VGPRBlocks: 0
; NumSGPRsForWavesPerEU: 10
; NumVGPRsForWavesPerEU: 4
; NamedBarCnt: 0
; Occupancy: 16
; WaveLimiterHint : 0
; COMPUTE_PGM_RSRC2:SCRATCH_EN: 0
; COMPUTE_PGM_RSRC2:USER_SGPR: 2
; COMPUTE_PGM_RSRC2:TRAP_HANDLER: 0
; COMPUTE_PGM_RSRC2:TGID_X_EN: 1
; COMPUTE_PGM_RSRC2:TGID_Y_EN: 0
; COMPUTE_PGM_RSRC2:TGID_Z_EN: 0
; COMPUTE_PGM_RSRC2:TIDIG_COMP_CNT: 0
	.section	.text._Z24merge_attn_states_kernelIfLj128EEvPT_PKS0_S3_PfPKfS6_jjj,"axG",@progbits,_Z24merge_attn_states_kernelIfLj128EEvPT_PKS0_S3_PfPKfS6_jjj,comdat
	.protected	_Z24merge_attn_states_kernelIfLj128EEvPT_PKS0_S3_PfPKfS6_jjj ; -- Begin function _Z24merge_attn_states_kernelIfLj128EEvPT_PKS0_S3_PfPKfS6_jjj
	.globl	_Z24merge_attn_states_kernelIfLj128EEvPT_PKS0_S3_PfPKfS6_jjj
	.p2align	8
	.type	_Z24merge_attn_states_kernelIfLj128EEvPT_PKS0_S3_PfPKfS6_jjj,@function
_Z24merge_attn_states_kernelIfLj128EEvPT_PKS0_S3_PfPKfS6_jjj: ; @_Z24merge_attn_states_kernelIfLj128EEvPT_PKS0_S3_PfPKfS6_jjj
; %bb.0:
	s_load_b96 s[8:10], s[0:1], 0x30
	s_bfe_u32 s2, ttmp6, 0x4000c
	s_and_b32 s3, ttmp6, 15
	s_add_co_i32 s2, s2, 1
	s_getreg_b32 s4, hwreg(HW_REG_IB_STS2, 6, 4)
	s_mul_i32 s5, ttmp9, s2
	s_delay_alu instid0(SALU_CYCLE_1) | instskip(SKIP_4) | instid1(SALU_CYCLE_1)
	s_add_co_i32 s3, s3, s5
	s_wait_kmcnt 0x0
	s_lshr_b32 s2, s10, 2
	s_cmp_eq_u32 s4, 0
	s_cselect_b32 s3, ttmp9, s3
	v_lshl_add_u32 v1, s3, 7, v0
	s_mul_i32 s3, s9, s8
	s_delay_alu instid0(SALU_CYCLE_1)
	s_mul_i32 s3, s3, s2
	s_delay_alu instid0(VALU_DEP_1) | instid1(SALU_CYCLE_1)
	v_cmp_gt_u32_e32 vcc_lo, s3, v1
	s_and_saveexec_b32 s3, vcc_lo
	s_cbranch_execz .LBB1_5
; %bb.1:
	s_cvt_f32_u32 s3, s2
	s_sub_co_i32 s4, 0, s2
	s_delay_alu instid0(SALU_CYCLE_2) | instskip(SKIP_1) | instid1(TRANS32_DEP_1)
	v_rcp_iflag_f32_e32 v0, s3
	v_nop
	v_readfirstlane_b32 s3, v0
	s_mul_f32 s3, s3, 0x4f7ffffe
	s_delay_alu instid0(SALU_CYCLE_3) | instskip(NEXT) | instid1(SALU_CYCLE_3)
	s_cvt_u32_f32 s3, s3
	s_mul_i32 s4, s4, s3
	s_delay_alu instid0(SALU_CYCLE_1) | instskip(NEXT) | instid1(SALU_CYCLE_1)
	s_mul_hi_u32 s4, s3, s4
	s_add_co_i32 s3, s3, s4
	s_clause 0x1
	s_load_b64 s[8:9], s[0:1], 0x28
	s_load_b128 s[4:7], s[0:1], 0x18
	v_mul_hi_u32 v0, v1, s3
	s_delay_alu instid0(VALU_DEP_1) | instskip(NEXT) | instid1(VALU_DEP_1)
	v_mul_lo_u32 v2, v0, s2
	v_dual_add_nc_u32 v3, 1, v0 :: v_dual_sub_nc_u32 v2, v1, v2
	s_delay_alu instid0(VALU_DEP_1) | instskip(SKIP_1) | instid1(VALU_DEP_2)
	v_subrev_nc_u32_e32 v4, s2, v2
	v_cmp_le_u32_e32 vcc_lo, s2, v2
	v_dual_cndmask_b32 v0, v0, v3, vcc_lo :: v_dual_cndmask_b32 v2, v2, v4, vcc_lo
	s_delay_alu instid0(VALU_DEP_1) | instskip(NEXT) | instid1(VALU_DEP_2)
	v_add_nc_u32_e32 v3, 1, v0
	v_cmp_le_u32_e32 vcc_lo, s2, v2
	s_delay_alu instid0(VALU_DEP_2)
	v_cndmask_b32_e32 v0, v0, v3, vcc_lo
	s_wait_kmcnt 0x0
	s_clause 0x1
	global_load_b32 v2, v0, s[8:9] scale_offset
	global_load_b32 v3, v0, s[6:7] scale_offset
	s_wait_loadcnt 0x1
	v_cmp_neq_f32_e64 vcc_lo, 0x7f800000, |v2|
	v_cndmask_b32_e32 v2, 0xff800000, v2, vcc_lo
	s_wait_loadcnt 0x0
	v_cmp_neq_f32_e64 vcc_lo, 0x7f800000, |v3|
	s_delay_alu instid0(VALU_DEP_2) | instskip(NEXT) | instid1(VALU_DEP_1)
	v_dual_max_num_f32 v4, v2, v2 :: v_dual_cndmask_b32 v3, 0xff800000, v3
	v_max_num_f32_e32 v5, v3, v3
	s_delay_alu instid0(VALU_DEP_1) | instskip(NEXT) | instid1(VALU_DEP_1)
	v_max_num_f32_e32 v4, v5, v4
	v_dual_sub_f32 v3, v3, v4 :: v_dual_sub_f32 v5, v2, v4
	s_delay_alu instid0(VALU_DEP_1) | instskip(SKIP_1) | instid1(VALU_DEP_2)
	v_mul_f32_e32 v2, 0x3fb8aa3b, v3
	v_cmp_ngt_f32_e32 vcc_lo, 0xc2ce8ed0, v3
	v_fma_f32 v7, 0x3fb8aa3b, v3, -v2
	v_rndne_f32_e32 v8, v2
	s_delay_alu instid0(VALU_DEP_1) | instskip(NEXT) | instid1(VALU_DEP_1)
	v_dual_fmac_f32 v7, 0x32a5705f, v3 :: v_dual_sub_f32 v2, v2, v8
	v_add_f32_e32 v2, v2, v7
	v_cvt_i32_f32_e32 v7, v8
	v_mul_lo_u32 v8, v0, s2
	s_mov_b32 s2, exec_lo
	s_delay_alu instid0(VALU_DEP_3) | instskip(SKIP_1) | instid1(TRANS32_DEP_1)
	v_exp_f32_e32 v2, v2
	v_nop
	v_ldexp_f32 v2, v2, v7
	s_delay_alu instid0(VALU_DEP_1) | instskip(NEXT) | instid1(VALU_DEP_1)
	v_dual_mul_f32 v6, 0x3fb8aa3b, v5 :: v_dual_cndmask_b32 v7, 0, v2
	v_fma_f32 v9, 0x3fb8aa3b, v5, -v6
	v_rndne_f32_e32 v10, v6
	v_cmp_ngt_f32_e32 vcc_lo, 0xc2ce8ed0, v5
	s_delay_alu instid0(VALU_DEP_3) | instskip(NEXT) | instid1(VALU_DEP_3)
	v_dual_fmac_f32 v9, 0x32a5705f, v5 :: v_dual_sub_nc_u32 v2, v1, v8
	v_sub_f32_e32 v6, v6, v10
	s_delay_alu instid0(VALU_DEP_1) | instskip(SKIP_1) | instid1(VALU_DEP_2)
	v_add_f32_e32 v6, v6, v9
	v_cvt_i32_f32_e32 v9, v10
	v_exp_f32_e32 v6, v6
	v_nop
	s_delay_alu instid0(TRANS32_DEP_1) | instskip(NEXT) | instid1(VALU_DEP_1)
	v_ldexp_f32 v6, v6, v9
	v_cndmask_b32_e32 v9, 0, v6, vcc_lo
	v_cmp_nlt_f32_e32 vcc_lo, 0x42b17218, v3
	v_dual_cndmask_b32 v6, 0x7f800000, v7 :: v_dual_lshlrev_b32 v3, 2, v2
	v_cmp_nlt_f32_e32 vcc_lo, 0x42b17218, v5
	s_delay_alu instid0(VALU_DEP_4) | instskip(NEXT) | instid1(VALU_DEP_1)
	v_cndmask_b32_e32 v7, 0x7f800000, v9, vcc_lo
	v_dual_mov_b32 v1, 0 :: v_dual_add_f32 v5, v6, v7
	s_delay_alu instid0(VALU_DEP_4)
	v_cmpx_gt_u32_e64 s10, v3
	s_cbranch_execz .LBB1_3
; %bb.2:
	s_load_b64 s[6:7], s[0:1], 0x10
	v_mul_lo_u32 v8, v0, s10
	s_load_b128 s[8:11], s[0:1], 0x0
	v_dual_mov_b32 v9, v1 :: v_dual_mov_b32 v3, v1
	v_div_scale_f32 v25, vcc_lo, v7, v5, v7
	s_delay_alu instid0(VALU_DEP_2) | instskip(SKIP_1) | instid1(VALU_DEP_4)
	v_lshlrev_b64_e32 v[18:19], 4, v[2:3]
	v_div_scale_f32 v3, null, v5, v5, v7
	v_lshlrev_b64_e32 v[16:17], 2, v[8:9]
	s_wait_kmcnt 0x0
	s_delay_alu instid0(VALU_DEP_1) | instskip(SKIP_2) | instid1(VALU_DEP_3)
	v_add_nc_u64_e32 v[8:9], s[6:7], v[16:17]
	v_add_nc_u64_e32 v[10:11], s[10:11], v[16:17]
	;; [unrolled: 1-line block ×4, first 2 shown]
	s_delay_alu instid0(VALU_DEP_3)
	v_add_nc_u64_e32 v[22:23], v[10:11], v[18:19]
	global_load_b128 v[8:11], v[20:21], off
	global_load_b128 v[12:15], v[22:23], off
	s_wait_xcnt 0x1
	v_div_scale_f32 v20, null, v5, v5, v6
	v_rcp_f32_e32 v21, v3
	s_wait_xcnt 0x0
	s_delay_alu instid0(VALU_DEP_1) | instskip(NEXT) | instid1(TRANS32_DEP_2)
	v_rcp_f32_e32 v22, v20
	v_fma_f32 v23, -v3, v21, 1.0
	s_delay_alu instid0(TRANS32_DEP_1) | instskip(NEXT) | instid1(VALU_DEP_2)
	v_fma_f32 v24, -v20, v22, 1.0
	v_fmac_f32_e32 v21, v23, v21
	v_div_scale_f32 v23, s0, v6, v5, v6
	s_delay_alu instid0(VALU_DEP_2) | instskip(NEXT) | instid1(VALU_DEP_1)
	v_dual_fmac_f32 v22, v24, v22 :: v_dual_mul_f32 v24, v25, v21
	v_mul_f32_e32 v26, v23, v22
	s_delay_alu instid0(VALU_DEP_1) | instskip(NEXT) | instid1(VALU_DEP_1)
	v_dual_fma_f32 v27, -v3, v24, v25 :: v_dual_fma_f32 v28, -v20, v26, v23
	v_dual_fmac_f32 v24, v27, v21 :: v_dual_fmac_f32 v26, v28, v22
	s_delay_alu instid0(VALU_DEP_1) | instskip(NEXT) | instid1(VALU_DEP_1)
	v_dual_fma_f32 v3, -v3, v24, v25 :: v_dual_fma_f32 v20, -v20, v26, v23
	v_div_fmas_f32 v3, v3, v21, v24
	s_mov_b32 vcc_lo, s0
	s_delay_alu instid0(VALU_DEP_2) | instskip(NEXT) | instid1(VALU_DEP_2)
	v_div_fmas_f32 v21, v20, v22, v26
	v_div_fixup_f32 v20, v3, v5, v7
	s_delay_alu instid0(VALU_DEP_2) | instskip(SKIP_1) | instid1(VALU_DEP_2)
	v_div_fixup_f32 v22, v21, v5, v6
	s_wait_loadcnt 0x1
	v_pk_mul_f32 v[6:7], v[20:21], v[8:9] op_sel_hi:[0,1]
	v_pk_mul_f32 v[8:9], v[20:21], v[10:11] op_sel_hi:[0,1]
	v_add_nc_u64_e32 v[10:11], v[16:17], v[18:19]
	s_wait_loadcnt 0x0
	s_delay_alu instid0(VALU_DEP_3) | instskip(NEXT) | instid1(VALU_DEP_3)
	v_pk_fma_f32 v[6:7], v[22:23], v[12:13], v[6:7] op_sel_hi:[0,1,1]
	v_pk_fma_f32 v[8:9], v[22:23], v[14:15], v[8:9] op_sel_hi:[0,1,1]
	global_store_b128 v[10:11], v[6:9], off
.LBB1_3:
	s_wait_xcnt 0x0
	s_or_b32 exec_lo, exec_lo, s2
	v_cmp_eq_u32_e32 vcc_lo, 0, v2
	s_cmp_lg_u64 s[4:5], 0
	s_cselect_b32 s0, -1, 0
	s_delay_alu instid0(SALU_CYCLE_1) | instskip(NEXT) | instid1(SALU_CYCLE_1)
	s_and_b32 s0, s0, vcc_lo
	s_and_b32 exec_lo, exec_lo, s0
	s_cbranch_execz .LBB1_5
; %bb.4:
	v_cmp_gt_f32_e32 vcc_lo, 0x800000, v5
	v_lshl_add_u64 v[0:1], v[0:1], 2, s[4:5]
	v_cndmask_b32_e64 v2, 0, 32, vcc_lo
	s_delay_alu instid0(VALU_DEP_1) | instskip(NEXT) | instid1(VALU_DEP_1)
	v_ldexp_f32 v2, v5, v2
	v_log_f32_e32 v2, v2
	v_nop
	s_delay_alu instid0(TRANS32_DEP_1) | instskip(SKIP_1) | instid1(VALU_DEP_2)
	v_mul_f32_e32 v3, 0x3f317217, v2
	v_cmp_gt_f32_e64 s0, 0x7f800000, |v2|
	v_fma_f32 v3, 0x3f317217, v2, -v3
	s_delay_alu instid0(VALU_DEP_1) | instskip(NEXT) | instid1(VALU_DEP_1)
	v_fmamk_f32 v3, v2, 0x3377d1cf, v3
	v_fmac_f32_e32 v3, 0x3f317217, v2
	s_delay_alu instid0(VALU_DEP_1) | instskip(SKIP_1) | instid1(VALU_DEP_1)
	v_cndmask_b32_e64 v2, v2, v3, s0
	v_cndmask_b32_e64 v3, 0, 0x41b17218, vcc_lo
	v_sub_f32_e32 v2, v2, v3
	s_delay_alu instid0(VALU_DEP_1)
	v_add_f32_e32 v2, v4, v2
	global_store_b32 v[0:1], v2, off
.LBB1_5:
	s_endpgm
	.section	.rodata,"a",@progbits
	.p2align	6, 0x0
	.amdhsa_kernel _Z24merge_attn_states_kernelIfLj128EEvPT_PKS0_S3_PfPKfS6_jjj
		.amdhsa_group_segment_fixed_size 0
		.amdhsa_private_segment_fixed_size 0
		.amdhsa_kernarg_size 60
		.amdhsa_user_sgpr_count 2
		.amdhsa_user_sgpr_dispatch_ptr 0
		.amdhsa_user_sgpr_queue_ptr 0
		.amdhsa_user_sgpr_kernarg_segment_ptr 1
		.amdhsa_user_sgpr_dispatch_id 0
		.amdhsa_user_sgpr_kernarg_preload_length 0
		.amdhsa_user_sgpr_kernarg_preload_offset 0
		.amdhsa_user_sgpr_private_segment_size 0
		.amdhsa_wavefront_size32 1
		.amdhsa_uses_dynamic_stack 0
		.amdhsa_enable_private_segment 0
		.amdhsa_system_sgpr_workgroup_id_x 1
		.amdhsa_system_sgpr_workgroup_id_y 0
		.amdhsa_system_sgpr_workgroup_id_z 0
		.amdhsa_system_sgpr_workgroup_info 0
		.amdhsa_system_vgpr_workitem_id 0
		.amdhsa_next_free_vgpr 29
		.amdhsa_next_free_sgpr 12
		.amdhsa_named_barrier_count 0
		.amdhsa_reserve_vcc 1
		.amdhsa_float_round_mode_32 0
		.amdhsa_float_round_mode_16_64 0
		.amdhsa_float_denorm_mode_32 3
		.amdhsa_float_denorm_mode_16_64 3
		.amdhsa_fp16_overflow 0
		.amdhsa_memory_ordered 1
		.amdhsa_forward_progress 1
		.amdhsa_inst_pref_size 9
		.amdhsa_round_robin_scheduling 0
		.amdhsa_exception_fp_ieee_invalid_op 0
		.amdhsa_exception_fp_denorm_src 0
		.amdhsa_exception_fp_ieee_div_zero 0
		.amdhsa_exception_fp_ieee_overflow 0
		.amdhsa_exception_fp_ieee_underflow 0
		.amdhsa_exception_fp_ieee_inexact 0
		.amdhsa_exception_int_div_zero 0
	.end_amdhsa_kernel
	.section	.text._Z24merge_attn_states_kernelIfLj128EEvPT_PKS0_S3_PfPKfS6_jjj,"axG",@progbits,_Z24merge_attn_states_kernelIfLj128EEvPT_PKS0_S3_PfPKfS6_jjj,comdat
.Lfunc_end1:
	.size	_Z24merge_attn_states_kernelIfLj128EEvPT_PKS0_S3_PfPKfS6_jjj, .Lfunc_end1-_Z24merge_attn_states_kernelIfLj128EEvPT_PKS0_S3_PfPKfS6_jjj
                                        ; -- End function
	.set _Z24merge_attn_states_kernelIfLj128EEvPT_PKS0_S3_PfPKfS6_jjj.num_vgpr, 29
	.set _Z24merge_attn_states_kernelIfLj128EEvPT_PKS0_S3_PfPKfS6_jjj.num_agpr, 0
	.set _Z24merge_attn_states_kernelIfLj128EEvPT_PKS0_S3_PfPKfS6_jjj.numbered_sgpr, 12
	.set _Z24merge_attn_states_kernelIfLj128EEvPT_PKS0_S3_PfPKfS6_jjj.num_named_barrier, 0
	.set _Z24merge_attn_states_kernelIfLj128EEvPT_PKS0_S3_PfPKfS6_jjj.private_seg_size, 0
	.set _Z24merge_attn_states_kernelIfLj128EEvPT_PKS0_S3_PfPKfS6_jjj.uses_vcc, 1
	.set _Z24merge_attn_states_kernelIfLj128EEvPT_PKS0_S3_PfPKfS6_jjj.uses_flat_scratch, 0
	.set _Z24merge_attn_states_kernelIfLj128EEvPT_PKS0_S3_PfPKfS6_jjj.has_dyn_sized_stack, 0
	.set _Z24merge_attn_states_kernelIfLj128EEvPT_PKS0_S3_PfPKfS6_jjj.has_recursion, 0
	.set _Z24merge_attn_states_kernelIfLj128EEvPT_PKS0_S3_PfPKfS6_jjj.has_indirect_call, 0
	.section	.AMDGPU.csdata,"",@progbits
; Kernel info:
; codeLenInByte = 1148
; TotalNumSgprs: 14
; NumVgprs: 29
; ScratchSize: 0
; MemoryBound: 0
; FloatMode: 240
; IeeeMode: 1
; LDSByteSize: 0 bytes/workgroup (compile time only)
; SGPRBlocks: 0
; VGPRBlocks: 1
; NumSGPRsForWavesPerEU: 14
; NumVGPRsForWavesPerEU: 29
; NamedBarCnt: 0
; Occupancy: 16
; WaveLimiterHint : 0
; COMPUTE_PGM_RSRC2:SCRATCH_EN: 0
; COMPUTE_PGM_RSRC2:USER_SGPR: 2
; COMPUTE_PGM_RSRC2:TRAP_HANDLER: 0
; COMPUTE_PGM_RSRC2:TGID_X_EN: 1
; COMPUTE_PGM_RSRC2:TGID_Y_EN: 0
; COMPUTE_PGM_RSRC2:TGID_Z_EN: 0
; COMPUTE_PGM_RSRC2:TIDIG_COMP_CNT: 0
	.section	.text._Z19uniform_fill_kernelI6__halfEvPT_mffj,"axG",@progbits,_Z19uniform_fill_kernelI6__halfEvPT_mffj,comdat
	.protected	_Z19uniform_fill_kernelI6__halfEvPT_mffj ; -- Begin function _Z19uniform_fill_kernelI6__halfEvPT_mffj
	.globl	_Z19uniform_fill_kernelI6__halfEvPT_mffj
	.p2align	8
	.type	_Z19uniform_fill_kernelI6__halfEvPT_mffj,@function
_Z19uniform_fill_kernelI6__halfEvPT_mffj: ; @_Z19uniform_fill_kernelI6__halfEvPT_mffj
; %bb.0:
	s_clause 0x1
	s_load_b32 s2, s[0:1], 0x2c
	s_load_b128 s[4:7], s[0:1], 0x0
	s_bfe_u32 s3, ttmp6, 0x4000c
	s_and_b32 s8, ttmp6, 15
	s_add_co_i32 s3, s3, 1
	s_getreg_b32 s9, hwreg(HW_REG_IB_STS2, 6, 4)
	s_mul_i32 s3, ttmp9, s3
	v_mov_b32_e32 v1, 0
	s_add_co_i32 s8, s8, s3
	s_wait_kmcnt 0x0
	s_and_b32 s2, s2, 0xffff
	s_cmp_eq_u32 s9, 0
	s_cselect_b32 s3, ttmp9, s8
	s_delay_alu instid0(SALU_CYCLE_1) | instskip(SKIP_1) | instid1(VALU_DEP_1)
	v_mad_nc_u64_u32 v[0:1], s2, s3, v[0:1]
	s_mov_b32 s2, exec_lo
	v_cmpx_gt_u64_e64 s[6:7], v[0:1]
	s_cbranch_execz .LBB2_2
; %bb.1:
	s_load_b96 s[0:2], s[0:1], 0x10
	s_wait_kmcnt 0x0
	v_xor_b32_e32 v2, s2, v0
	s_sub_f32 s1, s1, s0
	v_lshl_add_u64 v[0:1], v[0:1], 1, s[4:5]
	s_delay_alu instid0(VALU_DEP_2) | instskip(NEXT) | instid1(VALU_DEP_1)
	v_lshlrev_b32_e32 v3, 13, v2
	v_xor_b32_e32 v2, v3, v2
	s_delay_alu instid0(VALU_DEP_1) | instskip(NEXT) | instid1(VALU_DEP_1)
	v_lshrrev_b32_e32 v3, 17, v2
	v_xor_b32_e32 v2, v3, v2
	s_delay_alu instid0(VALU_DEP_1) | instskip(NEXT) | instid1(VALU_DEP_1)
	v_lshlrev_b32_e32 v3, 5, v2
	v_xor_b32_e32 v2, v3, v2
	s_delay_alu instid0(VALU_DEP_1) | instskip(NEXT) | instid1(VALU_DEP_1)
	v_lshrrev_b32_e32 v2, 8, v2
	v_cvt_f32_u32_e32 v2, v2
	s_delay_alu instid0(VALU_DEP_1) | instskip(NEXT) | instid1(VALU_DEP_1)
	v_mul_f32_e32 v2, 0x33800000, v2
	v_fma_mixlo_f16 v2, s1, v2, s0
	global_store_b16 v[0:1], v2, off
.LBB2_2:
	s_endpgm
	.section	.rodata,"a",@progbits
	.p2align	6, 0x0
	.amdhsa_kernel _Z19uniform_fill_kernelI6__halfEvPT_mffj
		.amdhsa_group_segment_fixed_size 0
		.amdhsa_private_segment_fixed_size 0
		.amdhsa_kernarg_size 288
		.amdhsa_user_sgpr_count 2
		.amdhsa_user_sgpr_dispatch_ptr 0
		.amdhsa_user_sgpr_queue_ptr 0
		.amdhsa_user_sgpr_kernarg_segment_ptr 1
		.amdhsa_user_sgpr_dispatch_id 0
		.amdhsa_user_sgpr_kernarg_preload_length 0
		.amdhsa_user_sgpr_kernarg_preload_offset 0
		.amdhsa_user_sgpr_private_segment_size 0
		.amdhsa_wavefront_size32 1
		.amdhsa_uses_dynamic_stack 0
		.amdhsa_enable_private_segment 0
		.amdhsa_system_sgpr_workgroup_id_x 1
		.amdhsa_system_sgpr_workgroup_id_y 0
		.amdhsa_system_sgpr_workgroup_id_z 0
		.amdhsa_system_sgpr_workgroup_info 0
		.amdhsa_system_vgpr_workitem_id 0
		.amdhsa_next_free_vgpr 4
		.amdhsa_next_free_sgpr 10
		.amdhsa_named_barrier_count 0
		.amdhsa_reserve_vcc 0
		.amdhsa_float_round_mode_32 0
		.amdhsa_float_round_mode_16_64 0
		.amdhsa_float_denorm_mode_32 3
		.amdhsa_float_denorm_mode_16_64 3
		.amdhsa_fp16_overflow 0
		.amdhsa_memory_ordered 1
		.amdhsa_forward_progress 1
		.amdhsa_inst_pref_size 2
		.amdhsa_round_robin_scheduling 0
		.amdhsa_exception_fp_ieee_invalid_op 0
		.amdhsa_exception_fp_denorm_src 0
		.amdhsa_exception_fp_ieee_div_zero 0
		.amdhsa_exception_fp_ieee_overflow 0
		.amdhsa_exception_fp_ieee_underflow 0
		.amdhsa_exception_fp_ieee_inexact 0
		.amdhsa_exception_int_div_zero 0
	.end_amdhsa_kernel
	.section	.text._Z19uniform_fill_kernelI6__halfEvPT_mffj,"axG",@progbits,_Z19uniform_fill_kernelI6__halfEvPT_mffj,comdat
.Lfunc_end2:
	.size	_Z19uniform_fill_kernelI6__halfEvPT_mffj, .Lfunc_end2-_Z19uniform_fill_kernelI6__halfEvPT_mffj
                                        ; -- End function
	.set _Z19uniform_fill_kernelI6__halfEvPT_mffj.num_vgpr, 4
	.set _Z19uniform_fill_kernelI6__halfEvPT_mffj.num_agpr, 0
	.set _Z19uniform_fill_kernelI6__halfEvPT_mffj.numbered_sgpr, 10
	.set _Z19uniform_fill_kernelI6__halfEvPT_mffj.num_named_barrier, 0
	.set _Z19uniform_fill_kernelI6__halfEvPT_mffj.private_seg_size, 0
	.set _Z19uniform_fill_kernelI6__halfEvPT_mffj.uses_vcc, 0
	.set _Z19uniform_fill_kernelI6__halfEvPT_mffj.uses_flat_scratch, 0
	.set _Z19uniform_fill_kernelI6__halfEvPT_mffj.has_dyn_sized_stack, 0
	.set _Z19uniform_fill_kernelI6__halfEvPT_mffj.has_recursion, 0
	.set _Z19uniform_fill_kernelI6__halfEvPT_mffj.has_indirect_call, 0
	.section	.AMDGPU.csdata,"",@progbits
; Kernel info:
; codeLenInByte = 212
; TotalNumSgprs: 10
; NumVgprs: 4
; ScratchSize: 0
; MemoryBound: 0
; FloatMode: 240
; IeeeMode: 1
; LDSByteSize: 0 bytes/workgroup (compile time only)
; SGPRBlocks: 0
; VGPRBlocks: 0
; NumSGPRsForWavesPerEU: 10
; NumVGPRsForWavesPerEU: 4
; NamedBarCnt: 0
; Occupancy: 16
; WaveLimiterHint : 0
; COMPUTE_PGM_RSRC2:SCRATCH_EN: 0
; COMPUTE_PGM_RSRC2:USER_SGPR: 2
; COMPUTE_PGM_RSRC2:TRAP_HANDLER: 0
; COMPUTE_PGM_RSRC2:TGID_X_EN: 1
; COMPUTE_PGM_RSRC2:TGID_Y_EN: 0
; COMPUTE_PGM_RSRC2:TGID_Z_EN: 0
; COMPUTE_PGM_RSRC2:TIDIG_COMP_CNT: 0
	.section	.text._Z24merge_attn_states_kernelI6__halfLj128EEvPT_PKS1_S4_PfPKfS7_jjj,"axG",@progbits,_Z24merge_attn_states_kernelI6__halfLj128EEvPT_PKS1_S4_PfPKfS7_jjj,comdat
	.protected	_Z24merge_attn_states_kernelI6__halfLj128EEvPT_PKS1_S4_PfPKfS7_jjj ; -- Begin function _Z24merge_attn_states_kernelI6__halfLj128EEvPT_PKS1_S4_PfPKfS7_jjj
	.globl	_Z24merge_attn_states_kernelI6__halfLj128EEvPT_PKS1_S4_PfPKfS7_jjj
	.p2align	8
	.type	_Z24merge_attn_states_kernelI6__halfLj128EEvPT_PKS1_S4_PfPKfS7_jjj,@function
_Z24merge_attn_states_kernelI6__halfLj128EEvPT_PKS1_S4_PfPKfS7_jjj: ; @_Z24merge_attn_states_kernelI6__halfLj128EEvPT_PKS1_S4_PfPKfS7_jjj
; %bb.0:
	s_load_b96 s[12:14], s[0:1], 0x30
	s_bfe_u32 s2, ttmp6, 0x4000c
	s_and_b32 s3, ttmp6, 15
	s_add_co_i32 s2, s2, 1
	s_getreg_b32 s4, hwreg(HW_REG_IB_STS2, 6, 4)
	s_mul_i32 s5, ttmp9, s2
	s_delay_alu instid0(SALU_CYCLE_1) | instskip(SKIP_4) | instid1(SALU_CYCLE_1)
	s_add_co_i32 s3, s3, s5
	s_wait_kmcnt 0x0
	s_lshr_b32 s2, s14, 3
	s_cmp_eq_u32 s4, 0
	s_cselect_b32 s3, ttmp9, s3
	v_lshl_add_u32 v1, s3, 7, v0
	s_mul_i32 s3, s13, s12
	s_delay_alu instid0(SALU_CYCLE_1)
	s_mul_i32 s3, s3, s2
	s_delay_alu instid0(VALU_DEP_1) | instid1(SALU_CYCLE_1)
	v_cmp_gt_u32_e32 vcc_lo, s3, v1
	s_and_saveexec_b32 s3, vcc_lo
	s_cbranch_execz .LBB3_5
; %bb.1:
	s_cvt_f32_u32 s3, s2
	s_sub_co_i32 s4, 0, s2
	s_delay_alu instid0(SALU_CYCLE_2) | instskip(SKIP_1) | instid1(TRANS32_DEP_1)
	v_rcp_iflag_f32_e32 v0, s3
	v_nop
	v_readfirstlane_b32 s3, v0
	s_mul_f32 s3, s3, 0x4f7ffffe
	s_delay_alu instid0(SALU_CYCLE_3) | instskip(NEXT) | instid1(SALU_CYCLE_3)
	s_cvt_u32_f32 s3, s3
	s_mul_i32 s4, s4, s3
	s_delay_alu instid0(SALU_CYCLE_1) | instskip(NEXT) | instid1(SALU_CYCLE_1)
	s_mul_hi_u32 s4, s3, s4
	s_add_co_i32 s3, s3, s4
	s_clause 0x1
	s_load_b64 s[8:9], s[0:1], 0x28
	s_load_b128 s[4:7], s[0:1], 0x18
	v_mul_hi_u32 v0, v1, s3
	s_delay_alu instid0(VALU_DEP_1) | instskip(NEXT) | instid1(VALU_DEP_1)
	v_mul_lo_u32 v2, v0, s2
	v_dual_add_nc_u32 v3, 1, v0 :: v_dual_sub_nc_u32 v2, v1, v2
	s_delay_alu instid0(VALU_DEP_1) | instskip(SKIP_1) | instid1(VALU_DEP_2)
	v_subrev_nc_u32_e32 v4, s2, v2
	v_cmp_le_u32_e32 vcc_lo, s2, v2
	v_dual_cndmask_b32 v0, v0, v3, vcc_lo :: v_dual_cndmask_b32 v2, v2, v4, vcc_lo
	s_delay_alu instid0(VALU_DEP_1) | instskip(NEXT) | instid1(VALU_DEP_2)
	v_add_nc_u32_e32 v3, 1, v0
	v_cmp_le_u32_e32 vcc_lo, s2, v2
	s_delay_alu instid0(VALU_DEP_2)
	v_cndmask_b32_e32 v0, v0, v3, vcc_lo
	s_wait_kmcnt 0x0
	s_clause 0x1
	global_load_b32 v2, v0, s[8:9] scale_offset
	global_load_b32 v3, v0, s[6:7] scale_offset
	s_wait_loadcnt 0x1
	v_cmp_neq_f32_e64 vcc_lo, 0x7f800000, |v2|
	v_cndmask_b32_e32 v2, 0xff800000, v2, vcc_lo
	s_wait_loadcnt 0x0
	v_cmp_neq_f32_e64 vcc_lo, 0x7f800000, |v3|
	s_delay_alu instid0(VALU_DEP_2) | instskip(NEXT) | instid1(VALU_DEP_1)
	v_dual_max_num_f32 v4, v2, v2 :: v_dual_cndmask_b32 v3, 0xff800000, v3
	v_max_num_f32_e32 v5, v3, v3
	s_delay_alu instid0(VALU_DEP_1) | instskip(NEXT) | instid1(VALU_DEP_1)
	v_max_num_f32_e32 v4, v5, v4
	v_dual_sub_f32 v3, v3, v4 :: v_dual_sub_f32 v5, v2, v4
	s_delay_alu instid0(VALU_DEP_1) | instskip(SKIP_1) | instid1(VALU_DEP_2)
	v_mul_f32_e32 v2, 0x3fb8aa3b, v3
	v_cmp_ngt_f32_e32 vcc_lo, 0xc2ce8ed0, v3
	v_fma_f32 v7, 0x3fb8aa3b, v3, -v2
	v_rndne_f32_e32 v8, v2
	s_delay_alu instid0(VALU_DEP_1) | instskip(NEXT) | instid1(VALU_DEP_1)
	v_dual_fmac_f32 v7, 0x32a5705f, v3 :: v_dual_sub_f32 v2, v2, v8
	v_add_f32_e32 v2, v2, v7
	v_cvt_i32_f32_e32 v7, v8
	v_mul_lo_u32 v8, v0, s2
	s_mov_b32 s2, exec_lo
	s_delay_alu instid0(VALU_DEP_3) | instskip(SKIP_1) | instid1(TRANS32_DEP_1)
	v_exp_f32_e32 v2, v2
	v_nop
	v_ldexp_f32 v2, v2, v7
	s_delay_alu instid0(VALU_DEP_1) | instskip(NEXT) | instid1(VALU_DEP_1)
	v_dual_mul_f32 v6, 0x3fb8aa3b, v5 :: v_dual_cndmask_b32 v7, 0, v2
	v_fma_f32 v9, 0x3fb8aa3b, v5, -v6
	v_rndne_f32_e32 v10, v6
	v_cmp_ngt_f32_e32 vcc_lo, 0xc2ce8ed0, v5
	s_delay_alu instid0(VALU_DEP_3) | instskip(NEXT) | instid1(VALU_DEP_3)
	v_dual_fmac_f32 v9, 0x32a5705f, v5 :: v_dual_sub_nc_u32 v2, v1, v8
	v_sub_f32_e32 v6, v6, v10
	s_delay_alu instid0(VALU_DEP_1) | instskip(SKIP_1) | instid1(VALU_DEP_2)
	v_add_f32_e32 v6, v6, v9
	v_cvt_i32_f32_e32 v9, v10
	v_exp_f32_e32 v6, v6
	v_nop
	s_delay_alu instid0(TRANS32_DEP_1) | instskip(NEXT) | instid1(VALU_DEP_1)
	v_ldexp_f32 v6, v6, v9
	v_cndmask_b32_e32 v9, 0, v6, vcc_lo
	v_cmp_nlt_f32_e32 vcc_lo, 0x42b17218, v3
	v_dual_cndmask_b32 v6, 0x7f800000, v7 :: v_dual_lshlrev_b32 v3, 3, v2
	v_cmp_nlt_f32_e32 vcc_lo, 0x42b17218, v5
	s_delay_alu instid0(VALU_DEP_4) | instskip(NEXT) | instid1(VALU_DEP_1)
	v_cndmask_b32_e32 v7, 0x7f800000, v9, vcc_lo
	v_dual_mov_b32 v1, 0 :: v_dual_add_f32 v5, v6, v7
	s_delay_alu instid0(VALU_DEP_4)
	v_cmpx_gt_u32_e64 s14, v3
	s_cbranch_execz .LBB3_3
; %bb.2:
	s_clause 0x1
	s_load_b128 s[8:11], s[0:1], 0x0
	s_load_b64 s[6:7], s[0:1], 0x10
	v_mul_lo_u32 v8, v0, s14
	v_dual_mov_b32 v9, v1 :: v_dual_mov_b32 v3, v1
	v_div_scale_f32 v25, vcc_lo, v6, v5, v6
	s_delay_alu instid0(VALU_DEP_2) | instskip(SKIP_1) | instid1(VALU_DEP_4)
	v_lshlrev_b64_e32 v[18:19], 4, v[2:3]
	v_div_scale_f32 v3, null, v5, v5, v6
	v_lshlrev_b64_e32 v[16:17], 1, v[8:9]
	s_wait_kmcnt 0x0
	s_delay_alu instid0(VALU_DEP_1) | instskip(SKIP_1) | instid1(VALU_DEP_2)
	v_add_nc_u64_e32 v[8:9], s[10:11], v[16:17]
	v_add_nc_u64_e32 v[10:11], s[6:7], v[16:17]
	;; [unrolled: 1-line block ×3, first 2 shown]
	s_delay_alu instid0(VALU_DEP_2)
	v_add_nc_u64_e32 v[22:23], v[10:11], v[18:19]
	global_load_b128 v[8:11], v[20:21], off
	global_load_b128 v[12:15], v[22:23], off
	s_wait_xcnt 0x1
	v_div_scale_f32 v20, null, v5, v5, v7
	v_rcp_f32_e32 v21, v3
	s_wait_xcnt 0x0
	s_delay_alu instid0(VALU_DEP_1) | instskip(NEXT) | instid1(TRANS32_DEP_2)
	v_rcp_f32_e32 v22, v20
	v_fma_f32 v23, -v3, v21, 1.0
	s_delay_alu instid0(TRANS32_DEP_1) | instskip(NEXT) | instid1(VALU_DEP_2)
	v_fma_f32 v24, -v20, v22, 1.0
	v_fmac_f32_e32 v21, v23, v21
	v_div_scale_f32 v23, s0, v7, v5, v7
	s_delay_alu instid0(VALU_DEP_2) | instskip(NEXT) | instid1(VALU_DEP_1)
	v_dual_fmac_f32 v22, v24, v22 :: v_dual_mul_f32 v24, v25, v21
	v_mul_f32_e32 v26, v23, v22
	s_delay_alu instid0(VALU_DEP_1) | instskip(NEXT) | instid1(VALU_DEP_1)
	v_dual_fma_f32 v27, -v3, v24, v25 :: v_dual_fma_f32 v28, -v20, v26, v23
	v_dual_fmac_f32 v24, v27, v21 :: v_dual_fmac_f32 v26, v28, v22
	s_delay_alu instid0(VALU_DEP_1) | instskip(NEXT) | instid1(VALU_DEP_1)
	v_dual_fma_f32 v3, -v3, v24, v25 :: v_dual_fma_f32 v20, -v20, v26, v23
	v_div_fmas_f32 v3, v3, v21, v24
	s_mov_b32 vcc_lo, s0
	s_delay_alu instid0(VALU_DEP_2) | instskip(NEXT) | instid1(VALU_DEP_2)
	v_div_fmas_f32 v20, v20, v22, v26
	v_div_fixup_f32 v21, v3, v5, v6
	s_delay_alu instid0(VALU_DEP_2) | instskip(SKIP_1) | instid1(VALU_DEP_2)
	v_div_fixup_f32 v20, v20, v5, v7
	v_add_nc_u64_e32 v[6:7], s[8:9], v[16:17]
	v_dual_mov_b32 v16, v21 :: v_dual_mov_b32 v17, v20
	s_delay_alu instid0(VALU_DEP_2)
	v_add_nc_u64_e32 v[18:19], v[6:7], v[18:19]
	s_wait_loadcnt 0x1
	v_dual_lshrrev_b32 v23, 16, v9 :: v_dual_lshrrev_b32 v27, 16, v11
	s_wait_loadcnt 0x0
	v_bfi_b32 v3, 0xffff, v12, v8
	v_bfi_b32 v25, 0xffff, v8, v12
	;; [unrolled: 1-line block ×3, first 2 shown]
	v_cvt_f32_f16_e32 v22, v13
	v_cvt_f32_f16_e32 v24, v12
	v_lshrrev_b32_e32 v13, 16, v13
	v_cvt_f32_f16_e32 v12, v9
	v_bfi_b32 v9, 0xffff, v14, v10
	v_cvt_f32_f16_e32 v26, v15
	v_cvt_f32_f16_e32 v28, v14
	v_lshrrev_b32_e32 v15, 16, v15
	v_cvt_f32_f16_e32 v14, v11
	v_dual_lshrrev_b32 v3, 16, v3 :: v_dual_lshrrev_b32 v11, 16, v25
	v_lshrrev_b32_e32 v29, 16, v29
	v_cvt_f32_f16_e32 v8, v8
	v_cvt_f32_f16_e32 v10, v10
	;; [unrolled: 1-line block ×3, first 2 shown]
	v_lshrrev_b32_e32 v30, 16, v9
	v_cvt_f32_f16_e32 v15, v15
	v_cvt_f32_f16_e32 v9, v11
	;; [unrolled: 1-line block ×6, first 2 shown]
	v_pk_mul_f32 v[12:13], v[16:17], v[12:13]
	v_cvt_f32_f16_e32 v29, v30
	v_pk_mul_f32 v[14:15], v[16:17], v[14:15]
	v_pk_mul_f32 v[8:9], v[16:17], v[8:9]
	;; [unrolled: 1-line block ×3, first 2 shown]
	v_pk_fma_f32 v[12:13], v[20:21], v[22:23], v[12:13]
	s_delay_alu instid0(VALU_DEP_4) | instskip(NEXT) | instid1(VALU_DEP_4)
	v_pk_fma_f32 v[14:15], v[20:21], v[26:27], v[14:15]
	v_pk_fma_f32 v[16:17], v[20:21], v[24:25], v[8:9]
	s_delay_alu instid0(VALU_DEP_4) | instskip(NEXT) | instid1(VALU_DEP_4)
	v_pk_fma_f32 v[10:11], v[20:21], v[28:29], v[10:11]
	v_cvt_pk_f16_f32 v7, v12, v13
	s_delay_alu instid0(VALU_DEP_4) | instskip(NEXT) | instid1(VALU_DEP_4)
	v_cvt_pk_f16_f32 v9, v14, v15
	v_cvt_pk_f16_f32 v6, v16, v17
	s_delay_alu instid0(VALU_DEP_4)
	v_cvt_pk_f16_f32 v8, v10, v11
	global_store_b128 v[18:19], v[6:9], off
.LBB3_3:
	s_wait_xcnt 0x0
	s_or_b32 exec_lo, exec_lo, s2
	v_cmp_eq_u32_e32 vcc_lo, 0, v2
	s_cmp_lg_u64 s[4:5], 0
	s_cselect_b32 s0, -1, 0
	s_delay_alu instid0(SALU_CYCLE_1) | instskip(NEXT) | instid1(SALU_CYCLE_1)
	s_and_b32 s0, s0, vcc_lo
	s_and_b32 exec_lo, exec_lo, s0
	s_cbranch_execz .LBB3_5
; %bb.4:
	v_cmp_gt_f32_e32 vcc_lo, 0x800000, v5
	v_lshl_add_u64 v[0:1], v[0:1], 2, s[4:5]
	v_cndmask_b32_e64 v2, 0, 32, vcc_lo
	s_delay_alu instid0(VALU_DEP_1) | instskip(NEXT) | instid1(VALU_DEP_1)
	v_ldexp_f32 v2, v5, v2
	v_log_f32_e32 v2, v2
	v_nop
	s_delay_alu instid0(TRANS32_DEP_1) | instskip(SKIP_1) | instid1(VALU_DEP_2)
	v_mul_f32_e32 v3, 0x3f317217, v2
	v_cmp_gt_f32_e64 s0, 0x7f800000, |v2|
	v_fma_f32 v3, 0x3f317217, v2, -v3
	s_delay_alu instid0(VALU_DEP_1) | instskip(NEXT) | instid1(VALU_DEP_1)
	v_fmamk_f32 v3, v2, 0x3377d1cf, v3
	v_fmac_f32_e32 v3, 0x3f317217, v2
	s_delay_alu instid0(VALU_DEP_1) | instskip(SKIP_1) | instid1(VALU_DEP_1)
	v_cndmask_b32_e64 v2, v2, v3, s0
	v_cndmask_b32_e64 v3, 0, 0x41b17218, vcc_lo
	v_sub_f32_e32 v2, v2, v3
	s_delay_alu instid0(VALU_DEP_1)
	v_add_f32_e32 v2, v4, v2
	global_store_b32 v[0:1], v2, off
.LBB3_5:
	s_endpgm
	.section	.rodata,"a",@progbits
	.p2align	6, 0x0
	.amdhsa_kernel _Z24merge_attn_states_kernelI6__halfLj128EEvPT_PKS1_S4_PfPKfS7_jjj
		.amdhsa_group_segment_fixed_size 0
		.amdhsa_private_segment_fixed_size 0
		.amdhsa_kernarg_size 60
		.amdhsa_user_sgpr_count 2
		.amdhsa_user_sgpr_dispatch_ptr 0
		.amdhsa_user_sgpr_queue_ptr 0
		.amdhsa_user_sgpr_kernarg_segment_ptr 1
		.amdhsa_user_sgpr_dispatch_id 0
		.amdhsa_user_sgpr_kernarg_preload_length 0
		.amdhsa_user_sgpr_kernarg_preload_offset 0
		.amdhsa_user_sgpr_private_segment_size 0
		.amdhsa_wavefront_size32 1
		.amdhsa_uses_dynamic_stack 0
		.amdhsa_enable_private_segment 0
		.amdhsa_system_sgpr_workgroup_id_x 1
		.amdhsa_system_sgpr_workgroup_id_y 0
		.amdhsa_system_sgpr_workgroup_id_z 0
		.amdhsa_system_sgpr_workgroup_info 0
		.amdhsa_system_vgpr_workitem_id 0
		.amdhsa_next_free_vgpr 31
		.amdhsa_next_free_sgpr 15
		.amdhsa_named_barrier_count 0
		.amdhsa_reserve_vcc 1
		.amdhsa_float_round_mode_32 0
		.amdhsa_float_round_mode_16_64 0
		.amdhsa_float_denorm_mode_32 3
		.amdhsa_float_denorm_mode_16_64 3
		.amdhsa_fp16_overflow 0
		.amdhsa_memory_ordered 1
		.amdhsa_forward_progress 1
		.amdhsa_inst_pref_size 11
		.amdhsa_round_robin_scheduling 0
		.amdhsa_exception_fp_ieee_invalid_op 0
		.amdhsa_exception_fp_denorm_src 0
		.amdhsa_exception_fp_ieee_div_zero 0
		.amdhsa_exception_fp_ieee_overflow 0
		.amdhsa_exception_fp_ieee_underflow 0
		.amdhsa_exception_fp_ieee_inexact 0
		.amdhsa_exception_int_div_zero 0
	.end_amdhsa_kernel
	.section	.text._Z24merge_attn_states_kernelI6__halfLj128EEvPT_PKS1_S4_PfPKfS7_jjj,"axG",@progbits,_Z24merge_attn_states_kernelI6__halfLj128EEvPT_PKS1_S4_PfPKfS7_jjj,comdat
.Lfunc_end3:
	.size	_Z24merge_attn_states_kernelI6__halfLj128EEvPT_PKS1_S4_PfPKfS7_jjj, .Lfunc_end3-_Z24merge_attn_states_kernelI6__halfLj128EEvPT_PKS1_S4_PfPKfS7_jjj
                                        ; -- End function
	.set _Z24merge_attn_states_kernelI6__halfLj128EEvPT_PKS1_S4_PfPKfS7_jjj.num_vgpr, 31
	.set _Z24merge_attn_states_kernelI6__halfLj128EEvPT_PKS1_S4_PfPKfS7_jjj.num_agpr, 0
	.set _Z24merge_attn_states_kernelI6__halfLj128EEvPT_PKS1_S4_PfPKfS7_jjj.numbered_sgpr, 15
	.set _Z24merge_attn_states_kernelI6__halfLj128EEvPT_PKS1_S4_PfPKfS7_jjj.num_named_barrier, 0
	.set _Z24merge_attn_states_kernelI6__halfLj128EEvPT_PKS1_S4_PfPKfS7_jjj.private_seg_size, 0
	.set _Z24merge_attn_states_kernelI6__halfLj128EEvPT_PKS1_S4_PfPKfS7_jjj.uses_vcc, 1
	.set _Z24merge_attn_states_kernelI6__halfLj128EEvPT_PKS1_S4_PfPKfS7_jjj.uses_flat_scratch, 0
	.set _Z24merge_attn_states_kernelI6__halfLj128EEvPT_PKS1_S4_PfPKfS7_jjj.has_dyn_sized_stack, 0
	.set _Z24merge_attn_states_kernelI6__halfLj128EEvPT_PKS1_S4_PfPKfS7_jjj.has_recursion, 0
	.set _Z24merge_attn_states_kernelI6__halfLj128EEvPT_PKS1_S4_PfPKfS7_jjj.has_indirect_call, 0
	.section	.AMDGPU.csdata,"",@progbits
; Kernel info:
; codeLenInByte = 1392
; TotalNumSgprs: 17
; NumVgprs: 31
; ScratchSize: 0
; MemoryBound: 0
; FloatMode: 240
; IeeeMode: 1
; LDSByteSize: 0 bytes/workgroup (compile time only)
; SGPRBlocks: 0
; VGPRBlocks: 1
; NumSGPRsForWavesPerEU: 17
; NumVGPRsForWavesPerEU: 31
; NamedBarCnt: 0
; Occupancy: 16
; WaveLimiterHint : 0
; COMPUTE_PGM_RSRC2:SCRATCH_EN: 0
; COMPUTE_PGM_RSRC2:USER_SGPR: 2
; COMPUTE_PGM_RSRC2:TRAP_HANDLER: 0
; COMPUTE_PGM_RSRC2:TGID_X_EN: 1
; COMPUTE_PGM_RSRC2:TGID_Y_EN: 0
; COMPUTE_PGM_RSRC2:TGID_Z_EN: 0
; COMPUTE_PGM_RSRC2:TIDIG_COMP_CNT: 0
	.section	.text._Z19uniform_fill_kernelI14__hip_bfloat16EvPT_mffj,"axG",@progbits,_Z19uniform_fill_kernelI14__hip_bfloat16EvPT_mffj,comdat
	.protected	_Z19uniform_fill_kernelI14__hip_bfloat16EvPT_mffj ; -- Begin function _Z19uniform_fill_kernelI14__hip_bfloat16EvPT_mffj
	.globl	_Z19uniform_fill_kernelI14__hip_bfloat16EvPT_mffj
	.p2align	8
	.type	_Z19uniform_fill_kernelI14__hip_bfloat16EvPT_mffj,@function
_Z19uniform_fill_kernelI14__hip_bfloat16EvPT_mffj: ; @_Z19uniform_fill_kernelI14__hip_bfloat16EvPT_mffj
; %bb.0:
	s_clause 0x1
	s_load_b32 s2, s[0:1], 0x2c
	s_load_b128 s[4:7], s[0:1], 0x0
	s_bfe_u32 s3, ttmp6, 0x4000c
	s_and_b32 s8, ttmp6, 15
	s_add_co_i32 s3, s3, 1
	s_getreg_b32 s9, hwreg(HW_REG_IB_STS2, 6, 4)
	s_mul_i32 s3, ttmp9, s3
	v_mov_b32_e32 v1, 0
	s_add_co_i32 s8, s8, s3
	s_wait_kmcnt 0x0
	s_and_b32 s2, s2, 0xffff
	s_cmp_eq_u32 s9, 0
	s_cselect_b32 s3, ttmp9, s8
	s_delay_alu instid0(SALU_CYCLE_1) | instskip(SKIP_1) | instid1(VALU_DEP_1)
	v_mad_nc_u64_u32 v[0:1], s2, s3, v[0:1]
	s_mov_b32 s2, exec_lo
	v_cmpx_gt_u64_e64 s[6:7], v[0:1]
	s_cbranch_execz .LBB4_2
; %bb.1:
	s_load_b96 s[0:2], s[0:1], 0x10
	s_wait_kmcnt 0x0
	v_xor_b32_e32 v2, s2, v0
	s_sub_f32 s1, s1, s0
	v_lshl_add_u64 v[0:1], v[0:1], 1, s[4:5]
	s_delay_alu instid0(VALU_DEP_2) | instskip(NEXT) | instid1(VALU_DEP_1)
	v_lshlrev_b32_e32 v3, 13, v2
	v_xor_b32_e32 v2, v3, v2
	s_delay_alu instid0(VALU_DEP_1) | instskip(NEXT) | instid1(VALU_DEP_1)
	v_lshrrev_b32_e32 v3, 17, v2
	v_xor_b32_e32 v2, v3, v2
	s_delay_alu instid0(VALU_DEP_1) | instskip(NEXT) | instid1(VALU_DEP_1)
	v_lshlrev_b32_e32 v3, 5, v2
	v_xor_b32_e32 v2, v3, v2
	s_delay_alu instid0(VALU_DEP_1) | instskip(NEXT) | instid1(VALU_DEP_1)
	v_lshrrev_b32_e32 v2, 8, v2
	v_cvt_f32_u32_e32 v2, v2
	s_delay_alu instid0(VALU_DEP_1) | instskip(NEXT) | instid1(VALU_DEP_1)
	v_mul_f32_e32 v2, 0x33800000, v2
	v_fma_mixlo_bf16 v2, s1, v2, s0
	global_store_b16 v[0:1], v2, off
.LBB4_2:
	s_endpgm
	.section	.rodata,"a",@progbits
	.p2align	6, 0x0
	.amdhsa_kernel _Z19uniform_fill_kernelI14__hip_bfloat16EvPT_mffj
		.amdhsa_group_segment_fixed_size 0
		.amdhsa_private_segment_fixed_size 0
		.amdhsa_kernarg_size 288
		.amdhsa_user_sgpr_count 2
		.amdhsa_user_sgpr_dispatch_ptr 0
		.amdhsa_user_sgpr_queue_ptr 0
		.amdhsa_user_sgpr_kernarg_segment_ptr 1
		.amdhsa_user_sgpr_dispatch_id 0
		.amdhsa_user_sgpr_kernarg_preload_length 0
		.amdhsa_user_sgpr_kernarg_preload_offset 0
		.amdhsa_user_sgpr_private_segment_size 0
		.amdhsa_wavefront_size32 1
		.amdhsa_uses_dynamic_stack 0
		.amdhsa_enable_private_segment 0
		.amdhsa_system_sgpr_workgroup_id_x 1
		.amdhsa_system_sgpr_workgroup_id_y 0
		.amdhsa_system_sgpr_workgroup_id_z 0
		.amdhsa_system_sgpr_workgroup_info 0
		.amdhsa_system_vgpr_workitem_id 0
		.amdhsa_next_free_vgpr 4
		.amdhsa_next_free_sgpr 10
		.amdhsa_named_barrier_count 0
		.amdhsa_reserve_vcc 0
		.amdhsa_float_round_mode_32 0
		.amdhsa_float_round_mode_16_64 0
		.amdhsa_float_denorm_mode_32 3
		.amdhsa_float_denorm_mode_16_64 3
		.amdhsa_fp16_overflow 0
		.amdhsa_memory_ordered 1
		.amdhsa_forward_progress 1
		.amdhsa_inst_pref_size 2
		.amdhsa_round_robin_scheduling 0
		.amdhsa_exception_fp_ieee_invalid_op 0
		.amdhsa_exception_fp_denorm_src 0
		.amdhsa_exception_fp_ieee_div_zero 0
		.amdhsa_exception_fp_ieee_overflow 0
		.amdhsa_exception_fp_ieee_underflow 0
		.amdhsa_exception_fp_ieee_inexact 0
		.amdhsa_exception_int_div_zero 0
	.end_amdhsa_kernel
	.section	.text._Z19uniform_fill_kernelI14__hip_bfloat16EvPT_mffj,"axG",@progbits,_Z19uniform_fill_kernelI14__hip_bfloat16EvPT_mffj,comdat
.Lfunc_end4:
	.size	_Z19uniform_fill_kernelI14__hip_bfloat16EvPT_mffj, .Lfunc_end4-_Z19uniform_fill_kernelI14__hip_bfloat16EvPT_mffj
                                        ; -- End function
	.set _Z19uniform_fill_kernelI14__hip_bfloat16EvPT_mffj.num_vgpr, 4
	.set _Z19uniform_fill_kernelI14__hip_bfloat16EvPT_mffj.num_agpr, 0
	.set _Z19uniform_fill_kernelI14__hip_bfloat16EvPT_mffj.numbered_sgpr, 10
	.set _Z19uniform_fill_kernelI14__hip_bfloat16EvPT_mffj.num_named_barrier, 0
	.set _Z19uniform_fill_kernelI14__hip_bfloat16EvPT_mffj.private_seg_size, 0
	.set _Z19uniform_fill_kernelI14__hip_bfloat16EvPT_mffj.uses_vcc, 0
	.set _Z19uniform_fill_kernelI14__hip_bfloat16EvPT_mffj.uses_flat_scratch, 0
	.set _Z19uniform_fill_kernelI14__hip_bfloat16EvPT_mffj.has_dyn_sized_stack, 0
	.set _Z19uniform_fill_kernelI14__hip_bfloat16EvPT_mffj.has_recursion, 0
	.set _Z19uniform_fill_kernelI14__hip_bfloat16EvPT_mffj.has_indirect_call, 0
	.section	.AMDGPU.csdata,"",@progbits
; Kernel info:
; codeLenInByte = 212
; TotalNumSgprs: 10
; NumVgprs: 4
; ScratchSize: 0
; MemoryBound: 0
; FloatMode: 240
; IeeeMode: 1
; LDSByteSize: 0 bytes/workgroup (compile time only)
; SGPRBlocks: 0
; VGPRBlocks: 0
; NumSGPRsForWavesPerEU: 10
; NumVGPRsForWavesPerEU: 4
; NamedBarCnt: 0
; Occupancy: 16
; WaveLimiterHint : 0
; COMPUTE_PGM_RSRC2:SCRATCH_EN: 0
; COMPUTE_PGM_RSRC2:USER_SGPR: 2
; COMPUTE_PGM_RSRC2:TRAP_HANDLER: 0
; COMPUTE_PGM_RSRC2:TGID_X_EN: 1
; COMPUTE_PGM_RSRC2:TGID_Y_EN: 0
; COMPUTE_PGM_RSRC2:TGID_Z_EN: 0
; COMPUTE_PGM_RSRC2:TIDIG_COMP_CNT: 0
	.section	.text._Z24merge_attn_states_kernelI14__hip_bfloat16Lj128EEvPT_PKS1_S4_PfPKfS7_jjj,"axG",@progbits,_Z24merge_attn_states_kernelI14__hip_bfloat16Lj128EEvPT_PKS1_S4_PfPKfS7_jjj,comdat
	.protected	_Z24merge_attn_states_kernelI14__hip_bfloat16Lj128EEvPT_PKS1_S4_PfPKfS7_jjj ; -- Begin function _Z24merge_attn_states_kernelI14__hip_bfloat16Lj128EEvPT_PKS1_S4_PfPKfS7_jjj
	.globl	_Z24merge_attn_states_kernelI14__hip_bfloat16Lj128EEvPT_PKS1_S4_PfPKfS7_jjj
	.p2align	8
	.type	_Z24merge_attn_states_kernelI14__hip_bfloat16Lj128EEvPT_PKS1_S4_PfPKfS7_jjj,@function
_Z24merge_attn_states_kernelI14__hip_bfloat16Lj128EEvPT_PKS1_S4_PfPKfS7_jjj: ; @_Z24merge_attn_states_kernelI14__hip_bfloat16Lj128EEvPT_PKS1_S4_PfPKfS7_jjj
; %bb.0:
	s_load_b96 s[12:14], s[0:1], 0x30
	s_bfe_u32 s2, ttmp6, 0x4000c
	s_and_b32 s3, ttmp6, 15
	s_add_co_i32 s2, s2, 1
	s_getreg_b32 s4, hwreg(HW_REG_IB_STS2, 6, 4)
	s_mul_i32 s5, ttmp9, s2
	s_delay_alu instid0(SALU_CYCLE_1) | instskip(SKIP_4) | instid1(SALU_CYCLE_1)
	s_add_co_i32 s3, s3, s5
	s_wait_kmcnt 0x0
	s_lshr_b32 s2, s14, 3
	s_cmp_eq_u32 s4, 0
	s_cselect_b32 s3, ttmp9, s3
	v_lshl_add_u32 v1, s3, 7, v0
	s_mul_i32 s3, s13, s12
	s_delay_alu instid0(SALU_CYCLE_1)
	s_mul_i32 s3, s3, s2
	s_delay_alu instid0(VALU_DEP_1) | instid1(SALU_CYCLE_1)
	v_cmp_gt_u32_e32 vcc_lo, s3, v1
	s_and_saveexec_b32 s3, vcc_lo
	s_cbranch_execz .LBB5_5
; %bb.1:
	s_cvt_f32_u32 s3, s2
	s_sub_co_i32 s4, 0, s2
	s_delay_alu instid0(SALU_CYCLE_2) | instskip(SKIP_1) | instid1(TRANS32_DEP_1)
	v_rcp_iflag_f32_e32 v0, s3
	v_nop
	v_readfirstlane_b32 s3, v0
	s_mul_f32 s3, s3, 0x4f7ffffe
	s_delay_alu instid0(SALU_CYCLE_3) | instskip(NEXT) | instid1(SALU_CYCLE_3)
	s_cvt_u32_f32 s3, s3
	s_mul_i32 s4, s4, s3
	s_delay_alu instid0(SALU_CYCLE_1) | instskip(NEXT) | instid1(SALU_CYCLE_1)
	s_mul_hi_u32 s4, s3, s4
	s_add_co_i32 s3, s3, s4
	s_clause 0x1
	s_load_b64 s[8:9], s[0:1], 0x28
	s_load_b128 s[4:7], s[0:1], 0x18
	v_mul_hi_u32 v0, v1, s3
	s_delay_alu instid0(VALU_DEP_1) | instskip(NEXT) | instid1(VALU_DEP_1)
	v_mul_lo_u32 v2, v0, s2
	v_dual_add_nc_u32 v3, 1, v0 :: v_dual_sub_nc_u32 v2, v1, v2
	s_delay_alu instid0(VALU_DEP_1) | instskip(SKIP_1) | instid1(VALU_DEP_2)
	v_subrev_nc_u32_e32 v4, s2, v2
	v_cmp_le_u32_e32 vcc_lo, s2, v2
	v_dual_cndmask_b32 v0, v0, v3, vcc_lo :: v_dual_cndmask_b32 v2, v2, v4, vcc_lo
	s_delay_alu instid0(VALU_DEP_1) | instskip(NEXT) | instid1(VALU_DEP_2)
	v_add_nc_u32_e32 v3, 1, v0
	v_cmp_le_u32_e32 vcc_lo, s2, v2
	s_delay_alu instid0(VALU_DEP_2)
	v_cndmask_b32_e32 v0, v0, v3, vcc_lo
	s_wait_kmcnt 0x0
	s_clause 0x1
	global_load_b32 v2, v0, s[8:9] scale_offset
	global_load_b32 v3, v0, s[6:7] scale_offset
	s_wait_loadcnt 0x1
	v_cmp_neq_f32_e64 vcc_lo, 0x7f800000, |v2|
	v_cndmask_b32_e32 v2, 0xff800000, v2, vcc_lo
	s_wait_loadcnt 0x0
	v_cmp_neq_f32_e64 vcc_lo, 0x7f800000, |v3|
	s_delay_alu instid0(VALU_DEP_2) | instskip(NEXT) | instid1(VALU_DEP_1)
	v_dual_max_num_f32 v4, v2, v2 :: v_dual_cndmask_b32 v3, 0xff800000, v3
	v_max_num_f32_e32 v5, v3, v3
	s_delay_alu instid0(VALU_DEP_1) | instskip(NEXT) | instid1(VALU_DEP_1)
	v_max_num_f32_e32 v4, v5, v4
	v_dual_sub_f32 v3, v3, v4 :: v_dual_sub_f32 v5, v2, v4
	s_delay_alu instid0(VALU_DEP_1) | instskip(SKIP_1) | instid1(VALU_DEP_2)
	v_mul_f32_e32 v2, 0x3fb8aa3b, v3
	v_cmp_ngt_f32_e32 vcc_lo, 0xc2ce8ed0, v3
	v_fma_f32 v7, 0x3fb8aa3b, v3, -v2
	v_rndne_f32_e32 v8, v2
	s_delay_alu instid0(VALU_DEP_1) | instskip(NEXT) | instid1(VALU_DEP_1)
	v_dual_fmac_f32 v7, 0x32a5705f, v3 :: v_dual_sub_f32 v2, v2, v8
	v_add_f32_e32 v2, v2, v7
	v_cvt_i32_f32_e32 v7, v8
	v_mul_lo_u32 v8, v0, s2
	s_mov_b32 s2, exec_lo
	s_delay_alu instid0(VALU_DEP_3) | instskip(SKIP_1) | instid1(TRANS32_DEP_1)
	v_exp_f32_e32 v2, v2
	v_nop
	v_ldexp_f32 v2, v2, v7
	s_delay_alu instid0(VALU_DEP_1) | instskip(NEXT) | instid1(VALU_DEP_1)
	v_dual_mul_f32 v6, 0x3fb8aa3b, v5 :: v_dual_cndmask_b32 v7, 0, v2
	v_fma_f32 v9, 0x3fb8aa3b, v5, -v6
	v_rndne_f32_e32 v10, v6
	v_cmp_ngt_f32_e32 vcc_lo, 0xc2ce8ed0, v5
	s_delay_alu instid0(VALU_DEP_3) | instskip(NEXT) | instid1(VALU_DEP_3)
	v_dual_fmac_f32 v9, 0x32a5705f, v5 :: v_dual_sub_nc_u32 v2, v1, v8
	v_sub_f32_e32 v6, v6, v10
	s_delay_alu instid0(VALU_DEP_1) | instskip(SKIP_1) | instid1(VALU_DEP_2)
	v_add_f32_e32 v6, v6, v9
	v_cvt_i32_f32_e32 v9, v10
	v_exp_f32_e32 v6, v6
	v_nop
	s_delay_alu instid0(TRANS32_DEP_1) | instskip(NEXT) | instid1(VALU_DEP_1)
	v_ldexp_f32 v6, v6, v9
	v_cndmask_b32_e32 v9, 0, v6, vcc_lo
	v_cmp_nlt_f32_e32 vcc_lo, 0x42b17218, v3
	v_dual_cndmask_b32 v6, 0x7f800000, v7 :: v_dual_lshlrev_b32 v3, 3, v2
	v_cmp_nlt_f32_e32 vcc_lo, 0x42b17218, v5
	s_delay_alu instid0(VALU_DEP_4) | instskip(NEXT) | instid1(VALU_DEP_1)
	v_cndmask_b32_e32 v7, 0x7f800000, v9, vcc_lo
	v_dual_mov_b32 v1, 0 :: v_dual_add_f32 v5, v6, v7
	s_delay_alu instid0(VALU_DEP_4)
	v_cmpx_gt_u32_e64 s14, v3
	s_cbranch_execz .LBB5_3
; %bb.2:
	s_clause 0x1
	s_load_b128 s[8:11], s[0:1], 0x0
	s_load_b64 s[6:7], s[0:1], 0x10
	v_mul_lo_u32 v8, v0, s14
	v_dual_mov_b32 v9, v1 :: v_dual_mov_b32 v3, v1
	v_div_scale_f32 v25, vcc_lo, v6, v5, v6
	s_delay_alu instid0(VALU_DEP_2) | instskip(SKIP_1) | instid1(VALU_DEP_4)
	v_lshlrev_b64_e32 v[18:19], 4, v[2:3]
	v_div_scale_f32 v3, null, v5, v5, v6
	v_lshlrev_b64_e32 v[16:17], 1, v[8:9]
	s_wait_kmcnt 0x0
	s_delay_alu instid0(VALU_DEP_1) | instskip(SKIP_1) | instid1(VALU_DEP_2)
	v_add_nc_u64_e32 v[8:9], s[10:11], v[16:17]
	v_add_nc_u64_e32 v[10:11], s[6:7], v[16:17]
	v_add_nc_u64_e32 v[20:21], v[8:9], v[18:19]
	s_delay_alu instid0(VALU_DEP_2)
	v_add_nc_u64_e32 v[22:23], v[10:11], v[18:19]
	global_load_b128 v[8:11], v[20:21], off
	global_load_b128 v[12:15], v[22:23], off
	s_wait_xcnt 0x1
	v_div_scale_f32 v20, null, v5, v5, v7
	v_rcp_f32_e32 v21, v3
	s_wait_xcnt 0x0
	s_delay_alu instid0(VALU_DEP_1) | instskip(NEXT) | instid1(TRANS32_DEP_2)
	v_rcp_f32_e32 v22, v20
	v_fma_f32 v23, -v3, v21, 1.0
	s_delay_alu instid0(TRANS32_DEP_1) | instskip(NEXT) | instid1(VALU_DEP_2)
	v_fma_f32 v24, -v20, v22, 1.0
	v_fmac_f32_e32 v21, v23, v21
	v_div_scale_f32 v23, s0, v7, v5, v7
	s_delay_alu instid0(VALU_DEP_2) | instskip(NEXT) | instid1(VALU_DEP_1)
	v_dual_fmac_f32 v22, v24, v22 :: v_dual_mul_f32 v24, v25, v21
	v_mul_f32_e32 v26, v23, v22
	s_delay_alu instid0(VALU_DEP_1) | instskip(NEXT) | instid1(VALU_DEP_1)
	v_dual_fma_f32 v27, -v3, v24, v25 :: v_dual_fma_f32 v28, -v20, v26, v23
	v_dual_fmac_f32 v24, v27, v21 :: v_dual_fmac_f32 v26, v28, v22
	s_delay_alu instid0(VALU_DEP_1) | instskip(NEXT) | instid1(VALU_DEP_1)
	v_dual_fma_f32 v3, -v3, v24, v25 :: v_dual_fma_f32 v20, -v20, v26, v23
	v_div_fmas_f32 v3, v3, v21, v24
	s_mov_b32 vcc_lo, s0
	s_delay_alu instid0(VALU_DEP_2) | instskip(NEXT) | instid1(VALU_DEP_2)
	v_div_fmas_f32 v20, v20, v22, v26
	v_div_fixup_f32 v21, v3, v5, v6
	s_delay_alu instid0(VALU_DEP_2) | instskip(SKIP_1) | instid1(VALU_DEP_2)
	v_div_fixup_f32 v20, v20, v5, v7
	v_add_nc_u64_e32 v[6:7], s[8:9], v[16:17]
	v_dual_mov_b32 v16, v21 :: v_dual_mov_b32 v17, v20
	s_wait_loadcnt 0x0
	v_bfi_b32 v22, 0xffff, v12, v8
	v_bfi_b32 v23, 0xffff, v8, v12
	;; [unrolled: 1-line block ×8, first 2 shown]
	v_and_b32_e32 v13, 0xffff0000, v12
	v_dual_lshlrev_b32 v12, 16, v12 :: v_dual_lshlrev_b32 v14, 16, v23
	v_and_b32_e32 v15, 0xffff0000, v23
	v_and_b32_e32 v25, 0xffff0000, v24
	v_lshlrev_b32_e32 v24, 16, v24
	v_and_b32_e32 v27, 0xffff0000, v26
	v_lshlrev_b32_e32 v26, 16, v26
	v_and_b32_e32 v9, 0xffff0000, v22
	v_dual_lshlrev_b32 v8, 16, v22 :: v_dual_lshlrev_b32 v10, 16, v3
	v_and_b32_e32 v11, 0xffff0000, v3
	v_and_b32_e32 v23, 0xffff0000, v29
	v_lshlrev_b32_e32 v22, 16, v29
	v_and_b32_e32 v29, 0xffff0000, v28
	v_lshlrev_b32_e32 v28, 16, v28
	v_pk_mul_f32 v[24:25], v[16:17], v[24:25]
	v_pk_mul_f32 v[26:27], v[16:17], v[26:27]
	;; [unrolled: 1-line block ×4, first 2 shown]
	s_delay_alu instid0(VALU_DEP_4) | instskip(NEXT) | instid1(VALU_DEP_4)
	v_pk_fma_f32 v[16:17], v[20:21], v[28:29], v[24:25]
	v_pk_fma_f32 v[22:23], v[20:21], v[22:23], v[26:27]
	s_delay_alu instid0(VALU_DEP_4) | instskip(NEXT) | instid1(VALU_DEP_4)
	v_pk_fma_f32 v[10:11], v[20:21], v[10:11], v[12:13]
	v_pk_fma_f32 v[12:13], v[20:21], v[8:9], v[14:15]
	v_add_nc_u64_e32 v[14:15], v[6:7], v[18:19]
	v_cvt_pk_bf16_f32 v9, v16, v17
	v_cvt_pk_bf16_f32 v8, v22, v23
	;; [unrolled: 1-line block ×4, first 2 shown]
	global_store_b128 v[14:15], v[6:9], off
.LBB5_3:
	s_wait_xcnt 0x0
	s_or_b32 exec_lo, exec_lo, s2
	v_cmp_eq_u32_e32 vcc_lo, 0, v2
	s_cmp_lg_u64 s[4:5], 0
	s_cselect_b32 s0, -1, 0
	s_delay_alu instid0(SALU_CYCLE_1) | instskip(NEXT) | instid1(SALU_CYCLE_1)
	s_and_b32 s0, s0, vcc_lo
	s_and_b32 exec_lo, exec_lo, s0
	s_cbranch_execz .LBB5_5
; %bb.4:
	v_cmp_gt_f32_e32 vcc_lo, 0x800000, v5
	v_lshl_add_u64 v[0:1], v[0:1], 2, s[4:5]
	v_cndmask_b32_e64 v2, 0, 32, vcc_lo
	s_delay_alu instid0(VALU_DEP_1) | instskip(NEXT) | instid1(VALU_DEP_1)
	v_ldexp_f32 v2, v5, v2
	v_log_f32_e32 v2, v2
	v_nop
	s_delay_alu instid0(TRANS32_DEP_1) | instskip(SKIP_1) | instid1(VALU_DEP_2)
	v_mul_f32_e32 v3, 0x3f317217, v2
	v_cmp_gt_f32_e64 s0, 0x7f800000, |v2|
	v_fma_f32 v3, 0x3f317217, v2, -v3
	s_delay_alu instid0(VALU_DEP_1) | instskip(NEXT) | instid1(VALU_DEP_1)
	v_fmamk_f32 v3, v2, 0x3377d1cf, v3
	v_fmac_f32_e32 v3, 0x3f317217, v2
	s_delay_alu instid0(VALU_DEP_1) | instskip(SKIP_1) | instid1(VALU_DEP_1)
	v_cndmask_b32_e64 v2, v2, v3, s0
	v_cndmask_b32_e64 v3, 0, 0x41b17218, vcc_lo
	v_sub_f32_e32 v2, v2, v3
	s_delay_alu instid0(VALU_DEP_1)
	v_add_f32_e32 v2, v4, v2
	global_store_b32 v[0:1], v2, off
.LBB5_5:
	s_endpgm
	.section	.rodata,"a",@progbits
	.p2align	6, 0x0
	.amdhsa_kernel _Z24merge_attn_states_kernelI14__hip_bfloat16Lj128EEvPT_PKS1_S4_PfPKfS7_jjj
		.amdhsa_group_segment_fixed_size 0
		.amdhsa_private_segment_fixed_size 0
		.amdhsa_kernarg_size 60
		.amdhsa_user_sgpr_count 2
		.amdhsa_user_sgpr_dispatch_ptr 0
		.amdhsa_user_sgpr_queue_ptr 0
		.amdhsa_user_sgpr_kernarg_segment_ptr 1
		.amdhsa_user_sgpr_dispatch_id 0
		.amdhsa_user_sgpr_kernarg_preload_length 0
		.amdhsa_user_sgpr_kernarg_preload_offset 0
		.amdhsa_user_sgpr_private_segment_size 0
		.amdhsa_wavefront_size32 1
		.amdhsa_uses_dynamic_stack 0
		.amdhsa_enable_private_segment 0
		.amdhsa_system_sgpr_workgroup_id_x 1
		.amdhsa_system_sgpr_workgroup_id_y 0
		.amdhsa_system_sgpr_workgroup_id_z 0
		.amdhsa_system_sgpr_workgroup_info 0
		.amdhsa_system_vgpr_workitem_id 0
		.amdhsa_next_free_vgpr 30
		.amdhsa_next_free_sgpr 15
		.amdhsa_named_barrier_count 0
		.amdhsa_reserve_vcc 1
		.amdhsa_float_round_mode_32 0
		.amdhsa_float_round_mode_16_64 0
		.amdhsa_float_denorm_mode_32 3
		.amdhsa_float_denorm_mode_16_64 3
		.amdhsa_fp16_overflow 0
		.amdhsa_memory_ordered 1
		.amdhsa_forward_progress 1
		.amdhsa_inst_pref_size 12
		.amdhsa_round_robin_scheduling 0
		.amdhsa_exception_fp_ieee_invalid_op 0
		.amdhsa_exception_fp_denorm_src 0
		.amdhsa_exception_fp_ieee_div_zero 0
		.amdhsa_exception_fp_ieee_overflow 0
		.amdhsa_exception_fp_ieee_underflow 0
		.amdhsa_exception_fp_ieee_inexact 0
		.amdhsa_exception_int_div_zero 0
	.end_amdhsa_kernel
	.section	.text._Z24merge_attn_states_kernelI14__hip_bfloat16Lj128EEvPT_PKS1_S4_PfPKfS7_jjj,"axG",@progbits,_Z24merge_attn_states_kernelI14__hip_bfloat16Lj128EEvPT_PKS1_S4_PfPKfS7_jjj,comdat
.Lfunc_end5:
	.size	_Z24merge_attn_states_kernelI14__hip_bfloat16Lj128EEvPT_PKS1_S4_PfPKfS7_jjj, .Lfunc_end5-_Z24merge_attn_states_kernelI14__hip_bfloat16Lj128EEvPT_PKS1_S4_PfPKfS7_jjj
                                        ; -- End function
	.set _Z24merge_attn_states_kernelI14__hip_bfloat16Lj128EEvPT_PKS1_S4_PfPKfS7_jjj.num_vgpr, 30
	.set _Z24merge_attn_states_kernelI14__hip_bfloat16Lj128EEvPT_PKS1_S4_PfPKfS7_jjj.num_agpr, 0
	.set _Z24merge_attn_states_kernelI14__hip_bfloat16Lj128EEvPT_PKS1_S4_PfPKfS7_jjj.numbered_sgpr, 15
	.set _Z24merge_attn_states_kernelI14__hip_bfloat16Lj128EEvPT_PKS1_S4_PfPKfS7_jjj.num_named_barrier, 0
	.set _Z24merge_attn_states_kernelI14__hip_bfloat16Lj128EEvPT_PKS1_S4_PfPKfS7_jjj.private_seg_size, 0
	.set _Z24merge_attn_states_kernelI14__hip_bfloat16Lj128EEvPT_PKS1_S4_PfPKfS7_jjj.uses_vcc, 1
	.set _Z24merge_attn_states_kernelI14__hip_bfloat16Lj128EEvPT_PKS1_S4_PfPKfS7_jjj.uses_flat_scratch, 0
	.set _Z24merge_attn_states_kernelI14__hip_bfloat16Lj128EEvPT_PKS1_S4_PfPKfS7_jjj.has_dyn_sized_stack, 0
	.set _Z24merge_attn_states_kernelI14__hip_bfloat16Lj128EEvPT_PKS1_S4_PfPKfS7_jjj.has_recursion, 0
	.set _Z24merge_attn_states_kernelI14__hip_bfloat16Lj128EEvPT_PKS1_S4_PfPKfS7_jjj.has_indirect_call, 0
	.section	.AMDGPU.csdata,"",@progbits
; Kernel info:
; codeLenInByte = 1424
; TotalNumSgprs: 17
; NumVgprs: 30
; ScratchSize: 0
; MemoryBound: 0
; FloatMode: 240
; IeeeMode: 1
; LDSByteSize: 0 bytes/workgroup (compile time only)
; SGPRBlocks: 0
; VGPRBlocks: 1
; NumSGPRsForWavesPerEU: 17
; NumVGPRsForWavesPerEU: 30
; NamedBarCnt: 0
; Occupancy: 16
; WaveLimiterHint : 0
; COMPUTE_PGM_RSRC2:SCRATCH_EN: 0
; COMPUTE_PGM_RSRC2:USER_SGPR: 2
; COMPUTE_PGM_RSRC2:TRAP_HANDLER: 0
; COMPUTE_PGM_RSRC2:TGID_X_EN: 1
; COMPUTE_PGM_RSRC2:TGID_Y_EN: 0
; COMPUTE_PGM_RSRC2:TGID_Z_EN: 0
; COMPUTE_PGM_RSRC2:TIDIG_COMP_CNT: 0
	.section	.AMDGPU.gpr_maximums,"",@progbits
	.set amdgpu.max_num_vgpr, 0
	.set amdgpu.max_num_agpr, 0
	.set amdgpu.max_num_sgpr, 0
	.section	.AMDGPU.csdata,"",@progbits
	.type	__hip_cuid_4d99e38dfaeaf34,@object ; @__hip_cuid_4d99e38dfaeaf34
	.section	.bss,"aw",@nobits
	.globl	__hip_cuid_4d99e38dfaeaf34
__hip_cuid_4d99e38dfaeaf34:
	.byte	0                               ; 0x0
	.size	__hip_cuid_4d99e38dfaeaf34, 1

	.ident	"AMD clang version 22.0.0git (https://github.com/RadeonOpenCompute/llvm-project roc-7.2.4 26084 f58b06dce1f9c15707c5f808fd002e18c2accf7e)"
	.section	".note.GNU-stack","",@progbits
	.addrsig
	.addrsig_sym __hip_cuid_4d99e38dfaeaf34
	.amdgpu_metadata
---
amdhsa.kernels:
  - .args:
      - .address_space:  global
        .offset:         0
        .size:           8
        .value_kind:     global_buffer
      - .offset:         8
        .size:           8
        .value_kind:     by_value
      - .offset:         16
        .size:           4
        .value_kind:     by_value
      - .offset:         20
        .size:           4
        .value_kind:     by_value
      - .offset:         24
        .size:           4
        .value_kind:     by_value
      - .offset:         32
        .size:           4
        .value_kind:     hidden_block_count_x
      - .offset:         36
        .size:           4
        .value_kind:     hidden_block_count_y
      - .offset:         40
        .size:           4
        .value_kind:     hidden_block_count_z
      - .offset:         44
        .size:           2
        .value_kind:     hidden_group_size_x
      - .offset:         46
        .size:           2
        .value_kind:     hidden_group_size_y
      - .offset:         48
        .size:           2
        .value_kind:     hidden_group_size_z
      - .offset:         50
        .size:           2
        .value_kind:     hidden_remainder_x
      - .offset:         52
        .size:           2
        .value_kind:     hidden_remainder_y
      - .offset:         54
        .size:           2
        .value_kind:     hidden_remainder_z
      - .offset:         72
        .size:           8
        .value_kind:     hidden_global_offset_x
      - .offset:         80
        .size:           8
        .value_kind:     hidden_global_offset_y
      - .offset:         88
        .size:           8
        .value_kind:     hidden_global_offset_z
      - .offset:         96
        .size:           2
        .value_kind:     hidden_grid_dims
    .group_segment_fixed_size: 0
    .kernarg_segment_align: 8
    .kernarg_segment_size: 288
    .language:       OpenCL C
    .language_version:
      - 2
      - 0
    .max_flat_workgroup_size: 1024
    .name:           _Z19uniform_fill_kernelIfEvPT_mffj
    .private_segment_fixed_size: 0
    .sgpr_count:     10
    .sgpr_spill_count: 0
    .symbol:         _Z19uniform_fill_kernelIfEvPT_mffj.kd
    .uniform_work_group_size: 1
    .uses_dynamic_stack: false
    .vgpr_count:     4
    .vgpr_spill_count: 0
    .wavefront_size: 32
  - .args:
      - .actual_access:  write_only
        .address_space:  global
        .offset:         0
        .size:           8
        .value_kind:     global_buffer
      - .actual_access:  read_only
        .address_space:  global
        .offset:         8
        .size:           8
        .value_kind:     global_buffer
      - .actual_access:  read_only
        .address_space:  global
        .offset:         16
        .size:           8
        .value_kind:     global_buffer
      - .actual_access:  write_only
        .address_space:  global
        .offset:         24
        .size:           8
        .value_kind:     global_buffer
      - .actual_access:  read_only
        .address_space:  global
        .offset:         32
        .size:           8
        .value_kind:     global_buffer
      - .actual_access:  read_only
        .address_space:  global
        .offset:         40
        .size:           8
        .value_kind:     global_buffer
      - .offset:         48
        .size:           4
        .value_kind:     by_value
      - .offset:         52
        .size:           4
        .value_kind:     by_value
      - .offset:         56
        .size:           4
        .value_kind:     by_value
    .group_segment_fixed_size: 0
    .kernarg_segment_align: 8
    .kernarg_segment_size: 60
    .language:       OpenCL C
    .language_version:
      - 2
      - 0
    .max_flat_workgroup_size: 1024
    .name:           _Z24merge_attn_states_kernelIfLj128EEvPT_PKS0_S3_PfPKfS6_jjj
    .private_segment_fixed_size: 0
    .sgpr_count:     14
    .sgpr_spill_count: 0
    .symbol:         _Z24merge_attn_states_kernelIfLj128EEvPT_PKS0_S3_PfPKfS6_jjj.kd
    .uniform_work_group_size: 1
    .uses_dynamic_stack: false
    .vgpr_count:     29
    .vgpr_spill_count: 0
    .wavefront_size: 32
  - .args:
      - .address_space:  global
        .offset:         0
        .size:           8
        .value_kind:     global_buffer
      - .offset:         8
        .size:           8
        .value_kind:     by_value
      - .offset:         16
        .size:           4
        .value_kind:     by_value
      - .offset:         20
        .size:           4
        .value_kind:     by_value
      - .offset:         24
        .size:           4
        .value_kind:     by_value
      - .offset:         32
        .size:           4
        .value_kind:     hidden_block_count_x
      - .offset:         36
        .size:           4
        .value_kind:     hidden_block_count_y
      - .offset:         40
        .size:           4
        .value_kind:     hidden_block_count_z
      - .offset:         44
        .size:           2
        .value_kind:     hidden_group_size_x
      - .offset:         46
        .size:           2
        .value_kind:     hidden_group_size_y
      - .offset:         48
        .size:           2
        .value_kind:     hidden_group_size_z
      - .offset:         50
        .size:           2
        .value_kind:     hidden_remainder_x
      - .offset:         52
        .size:           2
        .value_kind:     hidden_remainder_y
      - .offset:         54
        .size:           2
        .value_kind:     hidden_remainder_z
      - .offset:         72
        .size:           8
        .value_kind:     hidden_global_offset_x
      - .offset:         80
        .size:           8
        .value_kind:     hidden_global_offset_y
      - .offset:         88
        .size:           8
        .value_kind:     hidden_global_offset_z
      - .offset:         96
        .size:           2
        .value_kind:     hidden_grid_dims
    .group_segment_fixed_size: 0
    .kernarg_segment_align: 8
    .kernarg_segment_size: 288
    .language:       OpenCL C
    .language_version:
      - 2
      - 0
    .max_flat_workgroup_size: 1024
    .name:           _Z19uniform_fill_kernelI6__halfEvPT_mffj
    .private_segment_fixed_size: 0
    .sgpr_count:     10
    .sgpr_spill_count: 0
    .symbol:         _Z19uniform_fill_kernelI6__halfEvPT_mffj.kd
    .uniform_work_group_size: 1
    .uses_dynamic_stack: false
    .vgpr_count:     4
    .vgpr_spill_count: 0
    .wavefront_size: 32
  - .args:
      - .actual_access:  write_only
        .address_space:  global
        .offset:         0
        .size:           8
        .value_kind:     global_buffer
      - .actual_access:  read_only
        .address_space:  global
        .offset:         8
        .size:           8
        .value_kind:     global_buffer
      - .actual_access:  read_only
        .address_space:  global
        .offset:         16
        .size:           8
        .value_kind:     global_buffer
      - .actual_access:  write_only
        .address_space:  global
        .offset:         24
        .size:           8
        .value_kind:     global_buffer
      - .actual_access:  read_only
        .address_space:  global
        .offset:         32
        .size:           8
        .value_kind:     global_buffer
      - .actual_access:  read_only
        .address_space:  global
        .offset:         40
        .size:           8
        .value_kind:     global_buffer
      - .offset:         48
        .size:           4
        .value_kind:     by_value
      - .offset:         52
        .size:           4
        .value_kind:     by_value
      - .offset:         56
        .size:           4
        .value_kind:     by_value
    .group_segment_fixed_size: 0
    .kernarg_segment_align: 8
    .kernarg_segment_size: 60
    .language:       OpenCL C
    .language_version:
      - 2
      - 0
    .max_flat_workgroup_size: 1024
    .name:           _Z24merge_attn_states_kernelI6__halfLj128EEvPT_PKS1_S4_PfPKfS7_jjj
    .private_segment_fixed_size: 0
    .sgpr_count:     17
    .sgpr_spill_count: 0
    .symbol:         _Z24merge_attn_states_kernelI6__halfLj128EEvPT_PKS1_S4_PfPKfS7_jjj.kd
    .uniform_work_group_size: 1
    .uses_dynamic_stack: false
    .vgpr_count:     31
    .vgpr_spill_count: 0
    .wavefront_size: 32
  - .args:
      - .address_space:  global
        .offset:         0
        .size:           8
        .value_kind:     global_buffer
      - .offset:         8
        .size:           8
        .value_kind:     by_value
      - .offset:         16
        .size:           4
        .value_kind:     by_value
      - .offset:         20
        .size:           4
        .value_kind:     by_value
      - .offset:         24
        .size:           4
        .value_kind:     by_value
      - .offset:         32
        .size:           4
        .value_kind:     hidden_block_count_x
      - .offset:         36
        .size:           4
        .value_kind:     hidden_block_count_y
      - .offset:         40
        .size:           4
        .value_kind:     hidden_block_count_z
      - .offset:         44
        .size:           2
        .value_kind:     hidden_group_size_x
      - .offset:         46
        .size:           2
        .value_kind:     hidden_group_size_y
      - .offset:         48
        .size:           2
        .value_kind:     hidden_group_size_z
      - .offset:         50
        .size:           2
        .value_kind:     hidden_remainder_x
      - .offset:         52
        .size:           2
        .value_kind:     hidden_remainder_y
      - .offset:         54
        .size:           2
        .value_kind:     hidden_remainder_z
      - .offset:         72
        .size:           8
        .value_kind:     hidden_global_offset_x
      - .offset:         80
        .size:           8
        .value_kind:     hidden_global_offset_y
      - .offset:         88
        .size:           8
        .value_kind:     hidden_global_offset_z
      - .offset:         96
        .size:           2
        .value_kind:     hidden_grid_dims
    .group_segment_fixed_size: 0
    .kernarg_segment_align: 8
    .kernarg_segment_size: 288
    .language:       OpenCL C
    .language_version:
      - 2
      - 0
    .max_flat_workgroup_size: 1024
    .name:           _Z19uniform_fill_kernelI14__hip_bfloat16EvPT_mffj
    .private_segment_fixed_size: 0
    .sgpr_count:     10
    .sgpr_spill_count: 0
    .symbol:         _Z19uniform_fill_kernelI14__hip_bfloat16EvPT_mffj.kd
    .uniform_work_group_size: 1
    .uses_dynamic_stack: false
    .vgpr_count:     4
    .vgpr_spill_count: 0
    .wavefront_size: 32
  - .args:
      - .actual_access:  write_only
        .address_space:  global
        .offset:         0
        .size:           8
        .value_kind:     global_buffer
      - .actual_access:  read_only
        .address_space:  global
        .offset:         8
        .size:           8
        .value_kind:     global_buffer
      - .actual_access:  read_only
        .address_space:  global
        .offset:         16
        .size:           8
        .value_kind:     global_buffer
      - .actual_access:  write_only
        .address_space:  global
        .offset:         24
        .size:           8
        .value_kind:     global_buffer
      - .actual_access:  read_only
        .address_space:  global
        .offset:         32
        .size:           8
        .value_kind:     global_buffer
      - .actual_access:  read_only
        .address_space:  global
        .offset:         40
        .size:           8
        .value_kind:     global_buffer
      - .offset:         48
        .size:           4
        .value_kind:     by_value
      - .offset:         52
        .size:           4
        .value_kind:     by_value
      - .offset:         56
        .size:           4
        .value_kind:     by_value
    .group_segment_fixed_size: 0
    .kernarg_segment_align: 8
    .kernarg_segment_size: 60
    .language:       OpenCL C
    .language_version:
      - 2
      - 0
    .max_flat_workgroup_size: 1024
    .name:           _Z24merge_attn_states_kernelI14__hip_bfloat16Lj128EEvPT_PKS1_S4_PfPKfS7_jjj
    .private_segment_fixed_size: 0
    .sgpr_count:     17
    .sgpr_spill_count: 0
    .symbol:         _Z24merge_attn_states_kernelI14__hip_bfloat16Lj128EEvPT_PKS1_S4_PfPKfS7_jjj.kd
    .uniform_work_group_size: 1
    .uses_dynamic_stack: false
    .vgpr_count:     30
    .vgpr_spill_count: 0
    .wavefront_size: 32
amdhsa.target:   amdgcn-amd-amdhsa--gfx1250
amdhsa.version:
  - 1
  - 2
...

	.end_amdgpu_metadata
